;; amdgpu-corpus repo=ROCm/rocFFT kind=compiled arch=gfx950 opt=O3
	.text
	.amdgcn_target "amdgcn-amd-amdhsa--gfx950"
	.amdhsa_code_object_version 6
	.protected	bluestein_single_fwd_len416_dim1_sp_op_CI_CI ; -- Begin function bluestein_single_fwd_len416_dim1_sp_op_CI_CI
	.globl	bluestein_single_fwd_len416_dim1_sp_op_CI_CI
	.p2align	8
	.type	bluestein_single_fwd_len416_dim1_sp_op_CI_CI,@function
bluestein_single_fwd_len416_dim1_sp_op_CI_CI: ; @bluestein_single_fwd_len416_dim1_sp_op_CI_CI
; %bb.0:
	s_load_dwordx4 s[12:15], s[0:1], 0x28
	v_lshrrev_b32_e32 v1, 5, v0
	v_mov_b32_e32 v85, 0
	v_lshl_or_b32 v82, s2, 1, v1
	v_mov_b32_e32 v83, v85
	s_waitcnt lgkmcnt(0)
	v_cmp_gt_u64_e32 vcc, s[12:13], v[82:83]
	s_and_saveexec_b64 s[2:3], vcc
	s_cbranch_execz .LBB0_20
; %bb.1:
	s_load_dwordx4 s[4:7], s[0:1], 0x18
	s_load_dwordx4 s[8:11], s[0:1], 0x0
	v_and_b32_e32 v83, 31, v0
	v_mov_b32_e32 v2, s14
	v_mov_b32_e32 v3, s15
	s_waitcnt lgkmcnt(0)
	s_load_dwordx4 s[16:19], s[4:5], 0x0
	v_lshlrev_b32_e32 v84, 3, v83
	v_and_b32_e32 v0, 32, v0
	v_mov_b32_e32 v1, 0x1a0
	v_cmp_ne_u32_e32 vcc, 0, v0
	s_waitcnt lgkmcnt(0)
	v_mad_u64_u32 v[4:5], s[2:3], s18, v82, 0
	v_mov_b32_e32 v8, v5
	v_mad_u64_u32 v[6:7], s[2:3], s16, v83, 0
	v_mad_u64_u32 v[8:9], s[2:3], s19, v82, v[8:9]
	v_mov_b32_e32 v5, v8
	v_mov_b32_e32 v8, v7
	v_mad_u64_u32 v[8:9], s[2:3], s17, v83, v[8:9]
	v_mov_b32_e32 v7, v8
	v_lshl_add_u64 v[2:3], v[4:5], 3, v[2:3]
	v_lshl_add_u64 v[2:3], v[6:7], 3, v[2:3]
	s_lshl_b64 s[2:3], s[16:17], 8
	global_load_dwordx2 v[80:81], v84, s[8:9]
	global_load_dwordx2 v[4:5], v[2:3], off
	v_lshl_add_u64 v[2:3], v[2:3], 0, s[2:3]
	global_load_dwordx2 v[6:7], v[2:3], off
	global_load_dwordx2 v[78:79], v84, s[8:9] offset:256
	v_lshl_add_u64 v[2:3], v[2:3], 0, s[2:3]
	global_load_dwordx2 v[76:77], v84, s[8:9] offset:512
	global_load_dwordx2 v[8:9], v[2:3], off
	v_lshl_add_u64 v[2:3], v[2:3], 0, s[2:3]
	global_load_dwordx2 v[10:11], v[2:3], off
	global_load_dwordx2 v[74:75], v84, s[8:9] offset:768
	v_lshl_add_u64 v[2:3], v[2:3], 0, s[2:3]
	global_load_dwordx2 v[12:13], v[2:3], off
	global_load_dwordx2 v[72:73], v84, s[8:9] offset:1024
	;; [unrolled: 3-line block ×4, first 2 shown]
	global_load_dwordx2 v[68:69], v84, s[8:9] offset:1792
	v_lshl_add_u64 v[2:3], v[2:3], 0, s[2:3]
	global_load_dwordx2 v[18:19], v[2:3], off
	v_lshl_add_u64 v[2:3], v[2:3], 0, s[2:3]
	global_load_dwordx2 v[20:21], v[2:3], off
	global_load_dwordx2 v[62:63], v84, s[8:9] offset:2048
	v_lshl_add_u64 v[2:3], v[2:3], 0, s[2:3]
	global_load_dwordx2 v[22:23], v[2:3], off
	global_load_dwordx2 v[64:65], v84, s[8:9] offset:2304
	;; [unrolled: 3-line block ×3, first 2 shown]
	global_load_dwordx2 v[60:61], v84, s[8:9] offset:2816
	v_lshl_add_u64 v[2:3], v[2:3], 0, s[2:3]
	global_load_dwordx2 v[26:27], v[2:3], off
	global_load_dwordx2 v[56:57], v84, s[8:9] offset:3072
	v_lshl_add_u64 v[2:3], v[2:3], 0, s[2:3]
	global_load_dwordx2 v[2:3], v[2:3], off
	v_cndmask_b32_e32 v141, 0, v1, vcc
	v_or_b32_e32 v0, v141, v83
	v_lshlrev_b32_e32 v139, 3, v0
	v_lshl_or_b32 v138, v141, 3, v84
	v_add_u32_e32 v122, 0x400, v138
	v_add_u32_e32 v123, 0x800, v138
	s_load_dwordx4 s[4:7], s[6:7], 0x0
	s_mov_b32 s18, 0xbeedf032
	s_mov_b32 s12, 0xbf52af12
	;; [unrolled: 1-line block ×15, first 2 shown]
	s_waitcnt vmcnt(24)
	v_mul_f32_e32 v0, v5, v81
	v_mul_f32_e32 v1, v4, v81
	v_fmac_f32_e32 v0, v4, v80
	v_fma_f32 v1, v5, v80, -v1
	s_waitcnt vmcnt(22)
	v_mul_f32_e32 v4, v7, v79
	v_mul_f32_e32 v5, v6, v79
	ds_write_b64 v139, v[0:1]
	s_waitcnt vmcnt(20)
	v_mul_f32_e32 v0, v9, v77
	v_mul_f32_e32 v1, v8, v77
	v_fmac_f32_e32 v4, v6, v78
	v_fma_f32 v5, v7, v78, -v5
	v_fmac_f32_e32 v0, v8, v76
	v_fma_f32 v1, v9, v76, -v1
	s_waitcnt vmcnt(18)
	v_mul_f32_e32 v6, v11, v75
	v_mul_f32_e32 v7, v10, v75
	ds_write2_b64 v138, v[4:5], v[0:1] offset0:32 offset1:64
	s_waitcnt vmcnt(16)
	v_mul_f32_e32 v0, v13, v73
	v_mul_f32_e32 v1, v12, v73
	v_fmac_f32_e32 v6, v10, v74
	v_fma_f32 v7, v11, v74, -v7
	v_fmac_f32_e32 v0, v12, v72
	v_fma_f32 v1, v13, v72, -v1
	s_waitcnt vmcnt(14)
	v_mul_f32_e32 v4, v15, v67
	v_mul_f32_e32 v5, v14, v67
	ds_write2_b64 v138, v[6:7], v[0:1] offset0:96 offset1:128
	;; [unrolled: 11-line block ×3, first 2 shown]
	s_waitcnt vmcnt(8)
	v_mul_f32_e32 v0, v21, v63
	v_mul_f32_e32 v1, v20, v63
	v_fmac_f32_e32 v6, v18, v68
	v_fma_f32 v7, v19, v68, -v7
	v_fmac_f32_e32 v0, v20, v62
	v_fma_f32 v1, v21, v62, -v1
	ds_write2_b64 v122, v[6:7], v[0:1] offset0:96 offset1:128
	s_waitcnt vmcnt(6)
	v_mul_f32_e32 v0, v23, v65
	v_mul_f32_e32 v1, v22, v65
	s_waitcnt vmcnt(4)
	v_mul_f32_e32 v4, v25, v59
	v_mul_f32_e32 v5, v24, v59
	v_fmac_f32_e32 v0, v22, v64
	v_fma_f32 v1, v23, v64, -v1
	v_fmac_f32_e32 v4, v24, v58
	v_fma_f32 v5, v25, v58, -v5
	ds_write2_b64 v123, v[0:1], v[4:5] offset0:32 offset1:64
	s_waitcnt vmcnt(0)
	v_mul_f32_e32 v4, v3, v57
	v_mul_f32_e32 v0, v27, v61
	;; [unrolled: 1-line block ×3, first 2 shown]
	v_fmac_f32_e32 v4, v2, v56
	v_mul_f32_e32 v2, v2, v57
	v_fmac_f32_e32 v0, v26, v60
	v_fma_f32 v1, v27, v60, -v1
	v_fma_f32 v5, v3, v56, -v2
	ds_write2_b64 v123, v[0:1], v[4:5] offset0:96 offset1:128
	s_waitcnt lgkmcnt(0)
	; wave barrier
	s_waitcnt lgkmcnt(0)
	ds_read_b64 v[2:3], v139
	ds_read2_b64 v[6:9], v138 offset0:32 offset1:64
	ds_read2_b64 v[10:13], v138 offset0:96 offset1:128
	;; [unrolled: 1-line block ×6, first 2 shown]
	s_waitcnt lgkmcnt(5)
	v_pk_add_f32 v[0:1], v[2:3], v[6:7]
	s_waitcnt lgkmcnt(3)
	v_pk_add_f32 v[14:15], v[20:21], v[8:9]
	v_pk_add_f32 v[0:1], v[0:1], v[8:9]
	v_pk_add_f32 v[18:19], v[8:9], v[20:21] neg_lo:[0,1] neg_hi:[0,1]
	v_pk_add_f32 v[0:1], v[0:1], v[10:11]
	v_pk_add_f32 v[92:93], v[6:7], v[22:23] neg_lo:[0,1] neg_hi:[0,1]
	v_pk_add_f32 v[0:1], v[0:1], v[12:13]
	s_waitcnt lgkmcnt(1)
	v_pk_add_f32 v[26:27], v[40:41], v[34:35]
	v_pk_add_f32 v[0:1], v[0:1], v[34:35]
	v_pk_add_f32 v[30:31], v[34:35], v[40:41] neg_lo:[0,1] neg_hi:[0,1]
	v_pk_add_f32 v[0:1], v[0:1], v[36:37]
	v_pk_add_f32 v[54:55], v[22:23], v[6:7]
	;; [unrolled: 1-line block ×3, first 2 shown]
	v_pk_mul_f32 v[16:17], v[18:19], s[12:13] op_sel_hi:[1,0]
	v_pk_add_f32 v[0:1], v[0:1], v[40:41]
	s_waitcnt lgkmcnt(0)
	v_pk_add_f32 v[86:87], v[46:47], v[12:13]
	v_pk_add_f32 v[0:1], v[0:1], v[46:47]
	v_pk_add_f32 v[94:95], v[12:13], v[46:47] neg_lo:[0,1] neg_hi:[0,1]
	v_pk_add_f32 v[8:9], v[0:1], v[48:49]
	v_pk_add_f32 v[90:91], v[48:49], v[10:11]
	;; [unrolled: 1-line block ×3, first 2 shown]
	v_pk_add_f32 v[96:97], v[10:11], v[48:49] neg_lo:[0,1] neg_hi:[0,1]
	v_pk_add_f32 v[34:35], v[8:9], v[22:23]
	v_pk_mul_f32 v[8:9], v[92:93], s[18:19] op_sel_hi:[1,0]
	v_pk_fma_f32 v[4:5], v[14:15], s[2:3], v[16:17] op_sel:[0,0,1] op_sel_hi:[1,0,0]
	v_pk_fma_f32 v[6:7], v[54:55], s[16:17], v[8:9] op_sel:[0,0,1] op_sel_hi:[1,0,0]
	v_pk_fma_f32 v[12:13], v[54:55], s[16:17], v[8:9] op_sel:[0,0,1] op_sel_hi:[1,0,0] neg_lo:[0,0,1] neg_hi:[0,0,1]
	v_pk_fma_f32 v[10:11], v[14:15], s[2:3], v[16:17] op_sel:[0,0,1] op_sel_hi:[1,0,0] neg_lo:[0,0,1] neg_hi:[0,0,1]
	v_mov_b32_e32 v9, v13
	v_mov_b32_e32 v13, v7
	;; [unrolled: 1-line block ×4, first 2 shown]
	v_pk_add_f32 v[12:13], v[2:3], v[12:13]
	v_pk_mul_f32 v[16:17], v[96:97], s[30:31] op_sel_hi:[1,0]
	v_pk_add_f32 v[10:11], v[10:11], v[12:13]
	v_pk_fma_f32 v[12:13], v[90:91], s[14:15], v[16:17] op_sel:[0,0,1] op_sel_hi:[1,0,0]
	v_pk_fma_f32 v[16:17], v[90:91], s[14:15], v[16:17] op_sel:[0,0,1] op_sel_hi:[1,0,0] neg_lo:[0,0,1] neg_hi:[0,0,1]
	s_mov_b32 s18, 0xbeb58ec6
	v_mov_b32_e32 v5, v17
	v_mov_b32_e32 v17, v13
	v_pk_add_f32 v[10:11], v[16:17], v[10:11]
	v_pk_mul_f32 v[16:17], v[94:95], s[20:21] op_sel_hi:[1,0]
	v_pk_add_f32 v[44:45], v[36:37], v[38:39] neg_lo:[0,1] neg_hi:[0,1]
	v_pk_fma_f32 v[20:21], v[86:87], s[18:19], v[16:17] op_sel:[0,0,1] op_sel_hi:[1,0,0]
	v_pk_fma_f32 v[22:23], v[86:87], s[18:19], v[16:17] op_sel:[0,0,1] op_sel_hi:[1,0,0] neg_lo:[0,0,1] neg_hi:[0,0,1]
	v_pk_add_f32 v[32:33], v[38:39], v[36:37]
	v_mov_b32_e32 v17, v23
	v_mov_b32_e32 v23, v21
	v_pk_add_f32 v[10:11], v[22:23], v[10:11]
	v_pk_mul_f32 v[22:23], v[30:31], s[28:29] op_sel_hi:[1,0]
	v_mul_u32_u24_e32 v0, 13, v83
	v_pk_fma_f32 v[24:25], v[26:27], s[26:27], v[22:23] op_sel:[0,0,1] op_sel_hi:[1,0,0]
	v_pk_fma_f32 v[22:23], v[26:27], s[26:27], v[22:23] op_sel:[0,0,1] op_sel_hi:[1,0,0] neg_lo:[0,0,1] neg_hi:[0,0,1]
	v_add_lshl_u32 v140, v141, v0, 3
	v_mov_b32_e32 v21, v23
	v_mov_b32_e32 v23, v25
	v_pk_add_f32 v[10:11], v[22:23], v[10:11]
	v_pk_mul_f32 v[22:23], v[44:45], s[24:25] op_sel_hi:[1,0]
	v_pk_mul_f32 v[36:37], v[92:93], s[12:13] op_sel_hi:[1,0]
	v_pk_fma_f32 v[28:29], v[32:33], s[22:23], v[22:23] op_sel:[0,0,1] op_sel_hi:[1,0,0]
	v_pk_fma_f32 v[22:23], v[32:33], s[22:23], v[22:23] op_sel:[0,0,1] op_sel_hi:[1,0,0] neg_lo:[0,0,1] neg_hi:[0,0,1]
	s_nop 0
	v_mov_b32_e32 v13, v23
	v_mov_b32_e32 v23, v29
	v_pk_add_f32 v[10:11], v[22:23], v[10:11]
	; wave barrier
	ds_write2_b64 v140, v[34:35], v[10:11] offset1:1
	v_pk_mul_f32 v[10:11], v[18:19], s[20:21] op_sel_hi:[1,0]
	v_pk_fma_f32 v[34:35], v[54:55], s[2:3], v[36:37] op_sel:[0,0,1] op_sel_hi:[1,0,0] neg_lo:[0,0,1] neg_hi:[0,0,1]
	v_pk_fma_f32 v[36:37], v[54:55], s[2:3], v[36:37] op_sel:[0,0,1] op_sel_hi:[1,0,0]
	v_pk_fma_f32 v[22:23], v[14:15], s[18:19], v[10:11] op_sel:[0,0,1] op_sel_hi:[1,0,0] neg_lo:[0,0,1] neg_hi:[0,0,1]
	v_pk_fma_f32 v[10:11], v[14:15], s[18:19], v[10:11] op_sel:[0,0,1] op_sel_hi:[1,0,0]
	v_mov_b32_e32 v40, v34
	v_mov_b32_e32 v41, v37
	;; [unrolled: 1-line block ×4, first 2 shown]
	v_pk_add_f32 v[40:41], v[2:3], v[40:41]
	v_pk_mul_f32 v[104:105], v[92:93], s[30:31] op_sel_hi:[1,0]
	v_pk_add_f32 v[40:41], v[38:39], v[40:41]
	v_pk_mul_f32 v[38:39], v[96:97], s[24:25] op_sel_hi:[1,0]
	v_pk_fma_f32 v[102:103], v[54:55], s[14:15], v[104:105] op_sel:[0,0,1] op_sel_hi:[1,0,0] neg_lo:[0,0,1] neg_hi:[0,0,1]
	v_pk_fma_f32 v[42:43], v[90:91], s[22:23], v[38:39] op_sel:[0,0,1] op_sel_hi:[1,0,0] neg_lo:[0,0,1] neg_hi:[0,0,1]
	v_pk_fma_f32 v[38:39], v[90:91], s[22:23], v[38:39] op_sel:[0,0,1] op_sel_hi:[1,0,0]
	v_mov_b32_e32 v46, v42
	v_mov_b32_e32 v47, v39
	v_pk_add_f32 v[46:47], v[46:47], v[40:41]
	v_pk_mul_f32 v[40:41], v[94:95], s[38:39] op_sel_hi:[1,0]
	v_pk_fma_f32 v[104:105], v[54:55], s[14:15], v[104:105] op_sel:[0,0,1] op_sel_hi:[1,0,0]
	v_pk_fma_f32 v[48:49], v[86:87], s[26:27], v[40:41] op_sel:[0,0,1] op_sel_hi:[1,0,0] neg_lo:[0,0,1] neg_hi:[0,0,1]
	v_pk_fma_f32 v[40:41], v[86:87], s[26:27], v[40:41] op_sel:[0,0,1] op_sel_hi:[1,0,0]
	v_mov_b32_e32 v50, v48
	v_mov_b32_e32 v51, v41
	v_pk_add_f32 v[50:51], v[50:51], v[46:47]
	v_pk_mul_f32 v[46:47], v[30:31], s[34:35] op_sel_hi:[1,0]
	v_mov_b32_e32 v108, v102
	v_pk_fma_f32 v[52:53], v[26:27], s[14:15], v[46:47] op_sel:[0,0,1] op_sel_hi:[1,0,0] neg_lo:[0,0,1] neg_hi:[0,0,1]
	v_pk_fma_f32 v[46:47], v[26:27], s[14:15], v[46:47] op_sel:[0,0,1] op_sel_hi:[1,0,0]
	v_mov_b32_e32 v88, v52
	v_mov_b32_e32 v89, v47
	v_pk_add_f32 v[98:99], v[88:89], v[50:51]
	v_pk_mul_f32 v[50:51], v[44:45], s[36:37] op_sel_hi:[1,0]
	v_mov_b32_e32 v109, v105
	v_pk_fma_f32 v[88:89], v[32:33], s[16:17], v[50:51] op_sel:[0,0,1] op_sel_hi:[1,0,0] neg_lo:[0,0,1] neg_hi:[0,0,1]
	v_pk_fma_f32 v[50:51], v[32:33], s[16:17], v[50:51] op_sel:[0,0,1] op_sel_hi:[1,0,0]
	v_mov_b32_e32 v100, v88
	v_mov_b32_e32 v101, v51
	v_pk_add_f32 v[124:125], v[100:101], v[98:99]
	v_pk_mul_f32 v[98:99], v[18:19], s[24:25] op_sel_hi:[1,0]
	v_pk_add_f32 v[108:109], v[2:3], v[108:109]
	v_pk_fma_f32 v[100:101], v[14:15], s[22:23], v[98:99] op_sel:[0,0,1] op_sel_hi:[1,0,0] neg_lo:[0,0,1] neg_hi:[0,0,1]
	v_pk_fma_f32 v[98:99], v[14:15], s[22:23], v[98:99] op_sel:[0,0,1] op_sel_hi:[1,0,0]
	v_mov_b32_e32 v106, v100
	v_mov_b32_e32 v107, v99
	v_pk_add_f32 v[108:109], v[106:107], v[108:109]
	v_pk_mul_f32 v[106:107], v[96:97], s[40:41] op_sel_hi:[1,0]
	v_pk_mul_f32 v[130:131], v[92:93], s[20:21] op_sel_hi:[1,0]
	v_pk_fma_f32 v[112:113], v[90:91], s[18:19], v[106:107] op_sel:[0,0,1] op_sel_hi:[1,0,0] neg_lo:[0,0,1] neg_hi:[0,0,1]
	v_pk_fma_f32 v[106:107], v[90:91], s[18:19], v[106:107] op_sel:[0,0,1] op_sel_hi:[1,0,0]
	v_mov_b32_e32 v110, v112
	v_mov_b32_e32 v111, v107
	v_pk_add_f32 v[110:111], v[110:111], v[108:109]
	v_pk_mul_f32 v[108:109], v[94:95], s[36:37] op_sel_hi:[1,0]
	v_pk_fma_f32 v[132:133], v[54:55], s[18:19], v[130:131] op_sel:[0,0,1] op_sel_hi:[1,0,0] neg_lo:[0,0,1] neg_hi:[0,0,1]
	v_pk_fma_f32 v[116:117], v[86:87], s[16:17], v[108:109] op_sel:[0,0,1] op_sel_hi:[1,0,0] neg_lo:[0,0,1] neg_hi:[0,0,1]
	v_pk_fma_f32 v[108:109], v[86:87], s[16:17], v[108:109] op_sel:[0,0,1] op_sel_hi:[1,0,0]
	v_mov_b32_e32 v114, v116
	v_mov_b32_e32 v115, v109
	v_pk_add_f32 v[114:115], v[114:115], v[110:111]
	v_pk_mul_f32 v[110:111], v[30:31], s[12:13] op_sel_hi:[1,0]
	v_pk_fma_f32 v[130:131], v[54:55], s[18:19], v[130:131] op_sel:[0,0,1] op_sel_hi:[1,0,0]
	v_pk_fma_f32 v[118:119], v[26:27], s[2:3], v[110:111] op_sel:[0,0,1] op_sel_hi:[1,0,0] neg_lo:[0,0,1] neg_hi:[0,0,1]
	v_pk_fma_f32 v[110:111], v[26:27], s[2:3], v[110:111] op_sel:[0,0,1] op_sel_hi:[1,0,0]
	v_mov_b32_e32 v120, v118
	v_mov_b32_e32 v121, v111
	v_pk_add_f32 v[126:127], v[120:121], v[114:115]
	v_pk_mul_f32 v[114:115], v[44:45], s[28:29] op_sel_hi:[1,0]
	v_mov_b32_e32 v134, v132
	v_pk_fma_f32 v[120:121], v[32:33], s[26:27], v[114:115] op_sel:[0,0,1] op_sel_hi:[1,0,0] neg_lo:[0,0,1] neg_hi:[0,0,1]
	v_pk_fma_f32 v[114:115], v[32:33], s[26:27], v[114:115] op_sel:[0,0,1] op_sel_hi:[1,0,0]
	v_mov_b32_e32 v128, v120
	v_mov_b32_e32 v129, v115
	v_pk_add_f32 v[126:127], v[128:129], v[126:127]
	ds_write2_b64 v140, v[124:125], v[126:127] offset0:2 offset1:3
	v_pk_mul_f32 v[124:125], v[18:19], s[38:39] op_sel_hi:[1,0]
	v_mov_b32_e32 v135, v131
	v_pk_fma_f32 v[126:127], v[14:15], s[26:27], v[124:125] op_sel:[0,0,1] op_sel_hi:[1,0,0] neg_lo:[0,0,1] neg_hi:[0,0,1]
	v_pk_fma_f32 v[124:125], v[14:15], s[26:27], v[124:125] op_sel:[0,0,1] op_sel_hi:[1,0,0]
	v_mov_b32_e32 v128, v126
	v_mov_b32_e32 v129, v125
	v_pk_add_f32 v[134:135], v[2:3], v[134:135]
	s_mov_b32 s38, 0x3f52af12
	v_pk_add_f32 v[128:129], v[128:129], v[134:135]
	v_pk_mul_f32 v[134:135], v[96:97], s[36:37] op_sel_hi:[1,0]
	v_pk_mul_f32 v[160:161], v[92:93], s[28:29] op_sel_hi:[1,0]
	v_pk_fma_f32 v[136:137], v[90:91], s[16:17], v[134:135] op_sel:[0,0,1] op_sel_hi:[1,0,0] neg_lo:[0,0,1] neg_hi:[0,0,1]
	v_pk_fma_f32 v[134:135], v[90:91], s[16:17], v[134:135] op_sel:[0,0,1] op_sel_hi:[1,0,0]
	v_mov_b32_e32 v142, v136
	v_mov_b32_e32 v143, v135
	v_pk_add_f32 v[128:129], v[142:143], v[128:129]
	v_pk_mul_f32 v[142:143], v[94:95], s[30:31] op_sel_hi:[1,0]
	s_mov_b32 s30, 0x3e750f2a
	v_pk_fma_f32 v[144:145], v[86:87], s[14:15], v[142:143] op_sel:[0,0,1] op_sel_hi:[1,0,0] neg_lo:[0,0,1] neg_hi:[0,0,1]
	v_pk_fma_f32 v[142:143], v[86:87], s[14:15], v[142:143] op_sel:[0,0,1] op_sel_hi:[1,0,0]
	v_mov_b32_e32 v146, v144
	v_mov_b32_e32 v147, v143
	v_pk_add_f32 v[128:129], v[146:147], v[128:129]
	v_pk_mul_f32 v[146:147], v[30:31], s[30:31] op_sel_hi:[1,0]
	v_pk_fma_f32 v[162:163], v[54:55], s[26:27], v[160:161] op_sel:[0,0,1] op_sel_hi:[1,0,0] neg_lo:[0,0,1] neg_hi:[0,0,1]
	v_pk_fma_f32 v[148:149], v[26:27], s[22:23], v[146:147] op_sel:[0,0,1] op_sel_hi:[1,0,0] neg_lo:[0,0,1] neg_hi:[0,0,1]
	v_pk_fma_f32 v[146:147], v[26:27], s[22:23], v[146:147] op_sel:[0,0,1] op_sel_hi:[1,0,0]
	v_mov_b32_e32 v150, v148
	v_mov_b32_e32 v151, v147
	v_pk_add_f32 v[128:129], v[150:151], v[128:129]
	v_pk_mul_f32 v[150:151], v[44:45], s[38:39] op_sel_hi:[1,0]
	v_pk_fma_f32 v[160:161], v[54:55], s[26:27], v[160:161] op_sel:[0,0,1] op_sel_hi:[1,0,0]
	v_pk_fma_f32 v[152:153], v[32:33], s[2:3], v[150:151] op_sel:[0,0,1] op_sel_hi:[1,0,0] neg_lo:[0,0,1] neg_hi:[0,0,1]
	v_pk_fma_f32 v[150:151], v[32:33], s[2:3], v[150:151] op_sel:[0,0,1] op_sel_hi:[1,0,0]
	v_mov_b32_e32 v154, v152
	v_mov_b32_e32 v155, v151
	v_pk_add_f32 v[128:129], v[154:155], v[128:129]
	v_pk_mul_f32 v[154:155], v[18:19], s[34:35] op_sel_hi:[1,0]
	v_mov_b32_e32 v164, v162
	v_pk_fma_f32 v[156:157], v[14:15], s[14:15], v[154:155] op_sel:[0,0,1] op_sel_hi:[1,0,0] neg_lo:[0,0,1] neg_hi:[0,0,1]
	v_pk_fma_f32 v[154:155], v[14:15], s[14:15], v[154:155] op_sel:[0,0,1] op_sel_hi:[1,0,0]
	v_mov_b32_e32 v165, v161
	v_mov_b32_e32 v158, v156
	;; [unrolled: 1-line block ×3, first 2 shown]
	v_pk_add_f32 v[164:165], v[2:3], v[164:165]
	v_pk_mul_f32 v[18:19], v[18:19], s[36:37] op_sel_hi:[1,0]
	v_pk_add_f32 v[158:159], v[158:159], v[164:165]
	v_pk_mul_f32 v[164:165], v[96:97], s[12:13] op_sel_hi:[1,0]
	v_mov_b32_e32 v8, v6
	v_pk_fma_f32 v[166:167], v[90:91], s[2:3], v[164:165] op_sel:[0,0,1] op_sel_hi:[1,0,0] neg_lo:[0,0,1] neg_hi:[0,0,1]
	v_pk_fma_f32 v[164:165], v[90:91], s[2:3], v[164:165] op_sel:[0,0,1] op_sel_hi:[1,0,0]
	v_mov_b32_e32 v168, v166
	v_mov_b32_e32 v169, v165
	v_pk_add_f32 v[158:159], v[168:169], v[158:159]
	v_pk_mul_f32 v[168:169], v[94:95], s[30:31] op_sel_hi:[1,0]
	v_mov_b32_e32 v0, v4
	v_pk_fma_f32 v[170:171], v[86:87], s[22:23], v[168:169] op_sel:[0,0,1] op_sel_hi:[1,0,0] neg_lo:[0,0,1] neg_hi:[0,0,1]
	v_pk_fma_f32 v[168:169], v[86:87], s[22:23], v[168:169] op_sel:[0,0,1] op_sel_hi:[1,0,0]
	v_mov_b32_e32 v172, v170
	v_mov_b32_e32 v173, v169
	v_pk_add_f32 v[158:159], v[172:173], v[158:159]
	v_pk_mul_f32 v[172:173], v[30:31], s[36:37] op_sel_hi:[1,0]
	v_pk_mul_f32 v[30:31], v[30:31], s[20:21] op_sel_hi:[1,0]
	v_pk_fma_f32 v[174:175], v[26:27], s[16:17], v[172:173] op_sel:[0,0,1] op_sel_hi:[1,0,0] neg_lo:[0,0,1] neg_hi:[0,0,1]
	v_pk_fma_f32 v[172:173], v[26:27], s[16:17], v[172:173] op_sel:[0,0,1] op_sel_hi:[1,0,0]
	v_mov_b32_e32 v176, v174
	v_mov_b32_e32 v177, v173
	v_pk_add_f32 v[158:159], v[176:177], v[158:159]
	v_pk_mul_f32 v[176:177], v[44:45], s[20:21] op_sel_hi:[1,0]
	v_pk_add_f32 v[6:7], v[2:3], v[8:9]
	v_pk_fma_f32 v[178:179], v[32:33], s[18:19], v[176:177] op_sel:[0,0,1] op_sel_hi:[1,0,0] neg_lo:[0,0,1] neg_hi:[0,0,1]
	v_pk_fma_f32 v[176:177], v[32:33], s[18:19], v[176:177] op_sel:[0,0,1] op_sel_hi:[1,0,0]
	v_mov_b32_e32 v180, v178
	v_mov_b32_e32 v181, v177
	v_pk_add_f32 v[158:159], v[180:181], v[158:159]
	ds_write2_b64 v140, v[128:129], v[158:159] offset0:4 offset1:5
	v_pk_fma_f32 v[128:129], v[14:15], s[16:17], v[18:19] op_sel:[0,0,1] op_sel_hi:[1,0,0] neg_lo:[0,0,1] neg_hi:[0,0,1]
	v_pk_fma_f32 v[14:15], v[14:15], s[16:17], v[18:19] op_sel:[0,0,1] op_sel_hi:[1,0,0]
	v_pk_mul_f32 v[18:19], v[96:97], s[28:29] op_sel_hi:[1,0]
	v_mov_b32_e32 v161, v163
	v_pk_fma_f32 v[96:97], v[90:91], s[26:27], v[18:19] op_sel:[0,0,1] op_sel_hi:[1,0,0] neg_lo:[0,0,1] neg_hi:[0,0,1]
	v_pk_fma_f32 v[18:19], v[90:91], s[26:27], v[18:19] op_sel:[0,0,1] op_sel_hi:[1,0,0]
	v_pk_mul_f32 v[90:91], v[94:95], s[38:39] op_sel_hi:[1,0]
	v_mov_b32_e32 v131, v133
	v_pk_fma_f32 v[94:95], v[86:87], s[2:3], v[90:91] op_sel:[0,0,1] op_sel_hi:[1,0,0] neg_lo:[0,0,1] neg_hi:[0,0,1]
	v_pk_fma_f32 v[86:87], v[86:87], s[2:3], v[90:91] op_sel:[0,0,1] op_sel_hi:[1,0,0]
	v_pk_fma_f32 v[90:91], v[26:27], s[18:19], v[30:31] op_sel:[0,0,1] op_sel_hi:[1,0,0] neg_lo:[0,0,1] neg_hi:[0,0,1]
	v_pk_fma_f32 v[26:27], v[26:27], s[18:19], v[30:31] op_sel:[0,0,1] op_sel_hi:[1,0,0]
	v_pk_mul_f32 v[30:31], v[44:45], s[34:35] op_sel_hi:[1,0]
	v_mov_b32_e32 v4, v12
	v_pk_fma_f32 v[44:45], v[32:33], s[14:15], v[30:31] op_sel:[0,0,1] op_sel_hi:[1,0,0] neg_lo:[0,0,1] neg_hi:[0,0,1]
	v_pk_fma_f32 v[30:31], v[32:33], s[14:15], v[30:31] op_sel:[0,0,1] op_sel_hi:[1,0,0]
	v_pk_mul_f32 v[32:33], v[92:93], s[24:25] op_sel_hi:[1,0]
	v_pk_add_f32 v[0:1], v[0:1], v[6:7]
	v_pk_fma_f32 v[92:93], v[54:55], s[22:23], v[32:33] op_sel:[0,0,1] op_sel_hi:[1,0,0] neg_lo:[0,0,1] neg_hi:[0,0,1]
	v_pk_fma_f32 v[32:33], v[54:55], s[22:23], v[32:33] op_sel:[0,0,1] op_sel_hi:[1,0,0]
	v_mov_b32_e32 v158, v92
	v_mov_b32_e32 v159, v33
	;; [unrolled: 1-line block ×5, first 2 shown]
	v_pk_add_f32 v[158:159], v[2:3], v[158:159]
	v_mov_b32_e32 v15, v129
	v_pk_add_f32 v[32:33], v[2:3], v[32:33]
	v_pk_add_f32 v[54:55], v[54:55], v[158:159]
	v_mov_b32_e32 v158, v96
	v_mov_b32_e32 v159, v19
	v_mov_b32_e32 v19, v97
	v_pk_add_f32 v[14:15], v[14:15], v[32:33]
	v_pk_add_f32 v[54:55], v[158:159], v[54:55]
	v_mov_b32_e32 v158, v94
	v_mov_b32_e32 v159, v87
	;; [unrolled: 5-line block ×4, first 2 shown]
	v_mov_b32_e32 v31, v45
	v_pk_add_f32 v[14:15], v[26:27], v[14:15]
	v_pk_add_f32 v[54:55], v[158:159], v[54:55]
	;; [unrolled: 1-line block ×3, first 2 shown]
	v_mov_b32_e32 v105, v103
	v_mov_b32_e32 v37, v35
	ds_write2_b64 v140, v[54:55], v[14:15] offset0:6 offset1:7
	v_mov_b32_e32 v155, v157
	v_pk_add_f32 v[14:15], v[2:3], v[160:161]
	v_mov_b32_e32 v125, v127
	v_pk_add_f32 v[18:19], v[2:3], v[130:131]
	v_pk_add_f32 v[0:1], v[4:5], v[0:1]
	v_mov_b32_e32 v99, v101
	v_pk_add_f32 v[4:5], v[2:3], v[104:105]
	v_mov_b32_e32 v11, v23
	;; [unrolled: 2-line block ×13, first 2 shown]
	v_mov_b32_e32 v111, v119
	v_pk_add_f32 v[4:5], v[108:109], v[4:5]
	v_mov_b32_e32 v47, v53
	v_pk_add_f32 v[2:3], v[40:41], v[2:3]
	;; [unrolled: 2-line block ×7, first 2 shown]
	v_pk_add_f32 v[14:15], v[176:177], v[14:15]
	v_pk_add_f32 v[18:19], v[150:151], v[18:19]
	v_mov_b32_e32 v12, v28
	v_pk_add_f32 v[0:1], v[20:21], v[0:1]
	v_pk_add_f32 v[4:5], v[114:115], v[4:5]
	;; [unrolled: 1-line block ×3, first 2 shown]
	ds_write2_b64 v140, v[14:15], v[18:19] offset0:8 offset1:9
	v_pk_add_f32 v[0:1], v[12:13], v[0:1]
	ds_write2_b64 v140, v[4:5], v[2:3] offset0:10 offset1:11
	ds_write_b64 v140, v[0:1] offset:96
	s_waitcnt lgkmcnt(0)
	; wave barrier
	s_waitcnt lgkmcnt(0)
	ds_read2_b64 v[20:23], v138 offset0:160 offset1:208
	ds_read2_b64 v[8:11], v138 offset0:32 offset1:64
	;; [unrolled: 1-line block ×5, first 2 shown]
	ds_read_b64 v[24:25], v139
	ds_read_b64 v[28:29], v138 offset:2944
	s_load_dwordx2 s[12:13], s[0:1], 0x38
	v_or_b32_e32 v30, 0xc0, v83
	v_mov_b32_e32 v31, v85
	s_mov_b64 s[0:1], 0xd0
	v_cmp_gt_u64_e32 vcc, s[0:1], v[30:31]
                                        ; implicit-def: $vgpr26
	s_and_saveexec_b64 s[0:1], vcc
	s_cbranch_execz .LBB0_3
; %bb.2:
	v_add_u32_e32 v0, 0x600, v138
	ds_read2_b64 v[0:3], v0 offset1:208
	s_waitcnt lgkmcnt(0)
	v_mov_b32_e32 v26, v3
.LBB0_3:
	s_or_b64 exec, exec, s[0:1]
	v_mul_lo_u16_e32 v3, 20, v83
	v_or_b32_e32 v32, 32, v83
	v_lshrrev_b16_e32 v27, 8, v3
	v_mul_lo_u16_e32 v33, 20, v32
	v_mul_lo_u16_e32 v3, 13, v27
	v_lshrrev_b16_e32 v53, 8, v33
	v_sub_u16_e32 v52, v83, v3
	v_mov_b32_e32 v3, 3
	v_mul_lo_u16_e32 v33, 13, v53
	v_lshlrev_b32_sdwa v31, v3, v52 dst_sel:DWORD dst_unused:UNUSED_PAD src0_sel:DWORD src1_sel:BYTE_0
	v_sub_u16_e32 v100, v32, v33
	v_lshlrev_b32_sdwa v32, v3, v100 dst_sel:DWORD dst_unused:UNUSED_PAD src0_sel:DWORD src1_sel:BYTE_0
	global_load_dwordx2 v[88:89], v31, s[10:11]
	global_load_dwordx2 v[86:87], v32, s[10:11]
	v_or_b32_e32 v31, 64, v83
	v_mul_lo_u16_e32 v32, 0x4f, v31
	v_lshrrev_b16_e32 v101, 10, v32
	v_mul_lo_u16_e32 v32, 13, v101
	v_sub_u16_e32 v108, v31, v32
	v_or_b32_e32 v32, 0x60, v83
	v_mul_lo_u16_e32 v33, 0x4f, v32
	v_lshrrev_b16_e32 v109, 10, v33
	v_mul_lo_u16_e32 v33, 13, v109
	v_sub_u16_e32 v110, v32, v33
	;; [unrolled: 5-line block ×3, first 2 shown]
	v_or_b32_e32 v33, 0xa0, v83
	v_mul_lo_u16_e32 v34, 0x4f, v33
	v_lshrrev_b16_e32 v113, 10, v34
	v_mul_lo_u16_e32 v34, 13, v113
	v_lshlrev_b32_sdwa v32, v3, v112 dst_sel:DWORD dst_unused:UNUSED_PAD src0_sel:DWORD src1_sel:BYTE_0
	v_sub_u16_e32 v114, v33, v34
	v_lshlrev_b32_sdwa v31, v3, v108 dst_sel:DWORD dst_unused:UNUSED_PAD src0_sel:DWORD src1_sel:BYTE_0
	global_load_dwordx2 v[92:93], v32, s[10:11]
	v_lshlrev_b32_sdwa v32, v3, v114 dst_sel:DWORD dst_unused:UNUSED_PAD src0_sel:DWORD src1_sel:BYTE_0
	global_load_dwordx2 v[90:91], v32, s[10:11]
	;; [unrolled: 2-line block ×3, first 2 shown]
	global_load_dwordx2 v[96:97], v32, s[10:11]
	v_mul_lo_u16_e32 v31, 0x4f, v30
	v_lshrrev_b16_e32 v115, 10, v31
	v_mul_lo_u16_e32 v31, 13, v115
	v_sub_u16_e32 v142, v30, v31
	v_lshlrev_b32_sdwa v3, v3, v142 dst_sel:DWORD dst_unused:UNUSED_PAD src0_sel:DWORD src1_sel:BYTE_0
	global_load_dwordx2 v[94:95], v3, s[10:11]
	s_waitcnt lgkmcnt(0)
	v_mov_b32_e32 v30, v13
	v_mov_b32_e32 v32, v19
	;; [unrolled: 1-line block ×8, first 2 shown]
	s_waitcnt lgkmcnt(0)
	; wave barrier
	v_mul_u32_u24_e32 v148, 26, v115
	s_waitcnt vmcnt(6)
	v_mul_f32_e32 v3, v23, v89
	s_waitcnt vmcnt(5)
	v_pk_mul_f32 v[38:39], v[12:13], v[86:87]
	v_mov_b32_e32 v40, v87
	v_mul_f32_e32 v36, v22, v89
	v_fma_f32 v22, v22, v88, -v3
	v_mov_b32_e32 v3, v38
	v_pk_mul_f32 v[38:39], v[12:13], v[40:41]
	v_pk_fma_f32 v[12:13], v[12:13], v[86:87], v[2:3] neg_lo:[1,0,0] neg_hi:[1,0,0]
	v_pk_fma_f32 v[30:31], v[30:31], v[86:87], v[38:39]
	v_fmac_f32_e32 v36, v23, v88
	v_mov_b32_e32 v37, v13
	s_waitcnt vmcnt(4)
	v_pk_mul_f32 v[42:43], v[18:19], v[92:93]
	s_nop 0
	v_mov_b32_e32 v42, v93
	s_waitcnt vmcnt(3)
	v_mov_b32_e32 v44, v91
	v_mov_b32_e32 v40, v43
	v_pk_mul_f32 v[42:43], v[18:19], v[42:43]
	v_pk_mul_f32 v[44:45], v[28:29], v[44:45] op_sel:[1,0] op_sel_hi:[0,1]
	v_pk_fma_f32 v[38:39], v[32:33], v[92:93], v[42:43]
	v_pk_fma_f32 v[42:43], v[28:29], v[90:91], v[44:45] neg_lo:[0,0,1] neg_hi:[0,0,1]
	v_pk_mul_f32 v[46:47], v[28:29], v[90:91] op_sel:[1,0] op_sel_hi:[0,1]
	v_mov_b32_e32 v39, v42
	v_pk_add_f32 v[38:39], v[6:7], v[38:39] neg_lo:[0,1] neg_hi:[0,1]
	s_waitcnt vmcnt(2)
	v_pk_mul_f32 v[48:49], v[14:15], v[98:99] op_sel:[0,1]
	v_pk_fma_f32 v[102:103], v[6:7], 2.0, v[38:39] op_sel_hi:[1,0,1] neg_lo:[0,0,1] neg_hi:[0,0,1]
	s_waitcnt vmcnt(0)
	v_pk_mul_f32 v[6:7], v[26:27], v[94:95] op_sel_hi:[0,1]
	v_mov_b32_e32 v23, v46
	v_pk_fma_f32 v[12:13], v[2:3], v[94:95], v[6:7] op_sel:[0,0,1] op_sel_hi:[1,1,0] neg_lo:[0,0,1] neg_hi:[0,0,1]
	v_pk_fma_f32 v[2:3], v[2:3], v[94:95], v[6:7] op_sel:[0,0,1] op_sel_hi:[0,1,0]
	v_pk_fma_f32 v[46:47], v[14:15], v[98:99], v[48:49] op_sel:[0,0,1] op_sel_hi:[1,1,0] neg_lo:[0,0,1] neg_hi:[0,0,1]
	v_pk_fma_f32 v[14:15], v[14:15], v[98:99], v[48:49] op_sel:[0,0,1] op_sel_hi:[1,0,0]
	v_pk_fma_f32 v[18:19], v[18:19], v[92:93], v[40:41] neg_lo:[0,0,1] neg_hi:[0,0,1]
	v_pk_fma_f32 v[44:45], v[28:29], v[90:91], v[22:23] op_sel:[1,0,0] op_sel_hi:[0,1,1]
	v_mov_b32_e32 v13, v3
	v_pk_mul_f32 v[50:51], v[16:17], v[96:97] op_sel:[0,1]
	v_mov_b32_e32 v47, v15
	v_mov_b32_e32 v19, v45
	v_pk_add_f32 v[44:45], v[0:1], v[12:13] neg_lo:[0,1] neg_hi:[0,1]
	v_pk_fma_f32 v[48:49], v[16:17], v[96:97], v[50:51] op_sel:[0,0,1] op_sel_hi:[1,1,0] neg_lo:[0,0,1] neg_hi:[0,0,1]
	v_pk_fma_f32 v[16:17], v[16:17], v[96:97], v[50:51] op_sel:[0,0,1] op_sel_hi:[1,0,0]
	v_pk_add_f32 v[40:41], v[10:11], v[46:47] neg_lo:[0,1] neg_hi:[0,1]
	v_pk_fma_f32 v[50:51], v[0:1], 2.0, v[44:45] op_sel_hi:[1,0,1] neg_lo:[0,0,1] neg_hi:[0,0,1]
	v_mad_legacy_u16 v0, v27, 26, v52
	v_mov_b32_e32 v23, v30
	v_pk_fma_f32 v[54:55], v[10:11], 2.0, v[40:41] op_sel_hi:[1,0,1] neg_lo:[0,0,1] neg_hi:[0,0,1]
	v_mov_b32_e32 v10, v25
	v_mov_b32_e32 v11, v8
	v_and_b32_e32 v0, 0xff, v0
	v_pk_add_f32 v[32:33], v[20:21], v[22:23] neg_lo:[0,1] neg_hi:[0,1]
	v_pk_add_f32 v[104:105], v[10:11], v[36:37] neg_lo:[0,1] neg_hi:[0,1]
	v_add_lshl_u32 v143, v141, v0, 3
	v_mad_legacy_u16 v0, v53, 26, v100
	v_mov_b32_e32 v10, v32
	v_mov_b32_e32 v11, v104
	v_and_b32_e32 v0, 0xff, v0
	v_mov_b32_e32 v2, v105
	v_mov_b32_e32 v3, v33
	v_pk_fma_f32 v[106:107], v[24:25], 2.0, v[10:11] op_sel_hi:[1,0,1] neg_lo:[0,0,1] neg_hi:[0,0,1]
	v_add_lshl_u32 v144, v141, v0, 3
	v_pk_fma_f32 v[0:1], v[8:9], 2.0, v[2:3] op_sel_hi:[1,0,1] neg_lo:[0,0,1] neg_hi:[0,0,1]
	ds_write2_b64 v143, v[106:107], v[10:11] offset1:13
	ds_write2_b64 v144, v[0:1], v[2:3] offset1:13
	v_mul_lo_u16_e32 v2, 26, v101
	v_add_u32_sdwa v2, v2, v108 dst_sel:DWORD dst_unused:UNUSED_PAD src0_sel:DWORD src1_sel:BYTE_0
	v_add_lshl_u32 v145, v141, v2, 3
	v_mul_u32_u24_e32 v2, 26, v109
	v_add_u32_sdwa v2, v2, v110 dst_sel:DWORD dst_unused:UNUSED_PAD src0_sel:DWORD src1_sel:BYTE_0
	v_mov_b32_e32 v49, v17
	v_pk_add_f32 v[36:37], v[34:35], v[18:19] neg_lo:[0,1] neg_hi:[0,1]
	v_add_lshl_u32 v146, v141, v2, 3
	v_mul_u32_u24_e32 v2, 26, v111
	v_pk_add_f32 v[28:29], v[4:5], v[48:49] neg_lo:[0,1] neg_hi:[0,1]
	v_pk_fma_f32 v[30:31], v[34:35], 2.0, v[36:37] op_sel_hi:[1,0,1] neg_lo:[0,0,1] neg_hi:[0,0,1]
	v_add_u32_sdwa v2, v2, v112 dst_sel:DWORD dst_unused:UNUSED_PAD src0_sel:DWORD src1_sel:BYTE_0
	v_pk_fma_f32 v[42:43], v[4:5], 2.0, v[28:29] op_sel_hi:[1,0,1] neg_lo:[0,0,1] neg_hi:[0,0,1]
	v_add_lshl_u32 v147, v141, v2, 3
	v_mov_b32_e32 v2, v30
	v_mov_b32_e32 v3, v102
	;; [unrolled: 1-line block ×4, first 2 shown]
	ds_write2_b64 v145, v[54:55], v[40:41] offset1:13
	ds_write2_b64 v146, v[42:43], v[28:29] offset1:13
	;; [unrolled: 1-line block ×3, first 2 shown]
	v_mul_u32_u24_e32 v2, 26, v113
	v_add_u32_sdwa v2, v2, v114 dst_sel:DWORD dst_unused:UNUSED_PAD src0_sel:DWORD src1_sel:BYTE_0
	v_add_lshl_u32 v149, v141, v2, 3
	v_mov_b32_e32 v2, v103
	v_mov_b32_e32 v3, v31
	;; [unrolled: 1-line block ×4, first 2 shown]
	ds_write2_b64 v149, v[2:3], v[4:5] offset1:13
	s_and_saveexec_b64 s[0:1], vcc
	s_cbranch_execz .LBB0_5
; %bb.4:
	v_add_u32_sdwa v2, v148, v142 dst_sel:DWORD dst_unused:UNUSED_PAD src0_sel:DWORD src1_sel:BYTE_0
	v_add_lshl_u32 v2, v141, v2, 3
	ds_write2_b64 v2, v[50:51], v[44:45] offset1:13
.LBB0_5:
	s_or_b64 exec, exec, s[0:1]
	v_cmp_gt_u32_e64 s[0:1], 26, v83
	v_cmp_lt_u32_e64 s[2:3], 25, v83
	s_waitcnt lgkmcnt(0)
	; wave barrier
	s_waitcnt lgkmcnt(0)
                                        ; implicit-def: $vgpr48_vgpr49
	s_and_saveexec_b64 s[14:15], s[2:3]
	s_xor_b64 s[14:15], exec, s[14:15]
; %bb.6:
	v_mov_b32_e32 v48, v43
	v_mov_b32_e32 v49, v1
	;; [unrolled: 1-line block ×3, first 2 shown]
; %bb.7:
	s_or_saveexec_b64 s[14:15], s[14:15]
                                        ; implicit-def: $vgpr108
	s_xor_b64 exec, exec, s[14:15]
	s_cbranch_execz .LBB0_9
; %bb.8:
	v_add_u32_e32 v0, 0x400, v138
	ds_read2_b64 v[32:35], v138 offset0:26 offset1:52
	ds_read2_b64 v[52:55], v138 offset0:78 offset1:104
	;; [unrolled: 1-line block ×5, first 2 shown]
	v_add_u32_e32 v0, 0x800, v138
	ds_read2_b64 v[48:51], v0 offset0:30 offset1:56
	ds_read2_b64 v[44:47], v0 offset0:82 offset1:108
	ds_read_b64 v[106:107], v139
	ds_read_b64 v[108:109], v138 offset:3120
	s_waitcnt lgkmcnt(8)
	v_mov_b32_e32 v104, v33
	s_waitcnt lgkmcnt(5)
	v_mov_b32_e32 v102, v31
	;; [unrolled: 2-line block ×3, first 2 shown]
	v_mov_b32_e32 v31, v39
	v_mov_b32_e32 v105, v52
	;; [unrolled: 1-line block ×4, first 2 shown]
	s_waitcnt lgkmcnt(3)
	v_mov_b32_e32 v39, v48
	v_mov_b32_e32 v37, v49
	;; [unrolled: 1-line block ×5, first 2 shown]
.LBB0_9:
	s_or_b64 exec, exec, s[14:15]
	v_subrev_u32_e32 v0, 26, v83
	v_cndmask_b32_e64 v0, v0, v83, s[0:1]
	v_mul_hi_i32_i24_e32 v1, 0x78, v0
	v_mul_i32_i24_e32 v0, 0x78, v0
	v_lshl_add_u64 v[34:35], s[10:11], 0, v[0:1]
	global_load_dwordx4 v[0:3], v[34:35], off offset:104
	global_load_dwordx4 v[8:11], v[34:35], off offset:120
	;; [unrolled: 1-line block ×7, first 2 shown]
	global_load_dwordx2 v[100:101], v[34:35], off offset:216
	s_waitcnt lgkmcnt(1)
	v_add_f32_e32 v121, v106, v106
	v_mov_b32_e32 v52, v43
	v_mov_b32_e32 v110, v55
	;; [unrolled: 1-line block ×4, first 2 shown]
	s_mov_b32 s10, 0x3f3504f3
	s_mov_b32 s14, 0x3ec3ef15
	;; [unrolled: 1-line block ×3, first 2 shown]
	v_lshl_add_u64 v[34:35], s[8:9], 0, v[84:85]
	s_waitcnt vmcnt(7)
	v_pk_mul_f32 v[118:119], v[48:49], v[2:3]
	s_waitcnt vmcnt(6)
	v_pk_mul_f32 v[122:123], v[54:55], v[10:11]
	;; [unrolled: 2-line block ×4, first 2 shown]
	v_mov_b32_e32 v118, v11
	v_mov_b32_e32 v120, v5
	s_waitcnt vmcnt(1)
	v_pk_mul_f32 v[130:131], v[44:45], v[20:21]
	s_waitcnt vmcnt(0) lgkmcnt(0)
	v_pk_mul_f32 v[134:135], v[108:109], v[100:101]
	v_mov_b32_e32 v126, v21
	v_pk_mul_f32 v[132:133], v[46:47], v[22:23]
	v_mov_b32_e32 v150, v1
	v_mov_b32_e32 v151, v9
	;; [unrolled: 1-line block ×12, first 2 shown]
	v_pk_mul_f32 v[118:119], v[54:55], v[118:119]
	v_pk_mul_f32 v[156:157], v[40:41], v[120:121]
	v_mov_b32_e32 v120, v127
	v_pk_mul_f32 v[126:127], v[44:45], v[126:127]
	v_mov_b32_e32 v164, v135
	v_pk_mul_f32 v[150:151], v[32:33], v[150:151]
	v_pk_mul_f32 v[154:155], v[30:31], v[154:155]
	v_pk_fma_f32 v[40:41], v[40:41], v[4:5], v[134:135] neg_lo:[0,0,1] neg_hi:[0,0,1]
	v_pk_fma_f32 v[44:45], v[44:45], v[20:21], v[160:161] neg_lo:[0,0,1] neg_hi:[0,0,1]
	v_mov_b32_e32 v162, v133
	v_pk_fma_f32 v[52:53], v[52:53], v[2:3], v[130:131] neg_lo:[0,0,1] neg_hi:[0,0,1]
	v_pk_fma_f32 v[54:55], v[54:55], v[10:11], v[132:133] neg_lo:[0,0,1] neg_hi:[0,0,1]
	v_pk_fma_f32 v[130:131], v[110:111], v[10:11], v[118:119]
	v_pk_fma_f32 v[118:119], v[28:29], v[12:13], v[120:121] neg_lo:[0,0,1] neg_hi:[0,0,1]
	v_pk_fma_f32 v[132:133], v[108:109], v[100:101], v[164:165] neg_lo:[0,0,1] neg_hi:[0,0,1]
	v_pk_fma_f32 v[134:135], v[104:105], v[136:137], v[150:151]
	v_pk_fma_f32 v[136:137], v[104:105], v[136:137], v[150:151] neg_lo:[0,0,1] neg_hi:[0,0,1]
	v_pk_fma_f32 v[150:151], v[102:103], v[14:15], v[154:155]
	v_pk_fma_f32 v[152:153], v[102:103], v[152:153], v[154:155] neg_lo:[0,0,1] neg_hi:[0,0,1]
	v_pk_add_f32 v[154:155], v[40:41], v[44:45] neg_lo:[0,1] neg_hi:[0,1]
	v_mov_b32_e32 v116, v1
	v_mov_b32_e32 v122, v7
	;; [unrolled: 1-line block ×3, first 2 shown]
	v_pk_mul_f32 v[128:129], v[50:51], v[26:27]
	v_pk_fma_f32 v[110:111], v[112:113], v[4:5], v[156:157]
	v_pk_fma_f32 v[114:115], v[114:115], v[20:21], v[126:127]
	v_pk_add_f32 v[44:45], v[118:119], v[132:133] neg_lo:[0,1] neg_hi:[0,1]
	v_fma_f32 v133, v40, 2.0, -v154
	v_mov_b32_e32 v40, v17
	v_mov_b32_e32 v41, v25
	v_mov_b32_e32 v128, v16
	v_pk_mul_f32 v[116:117], v[104:105], v[116:117]
	v_pk_mul_f32 v[122:123], v[48:49], v[122:123]
	;; [unrolled: 1-line block ×3, first 2 shown]
	v_mov_b32_e32 v158, v129
	v_pk_add_f32 v[156:157], v[110:111], v[114:115] neg_lo:[0,1] neg_hi:[0,1]
	v_mov_b32_e32 v129, v24
	v_pk_mul_f32 v[40:41], v[36:37], v[40:41]
	v_pk_fma_f32 v[116:117], v[32:33], v[0:1], v[116:117] neg_lo:[0,0,1] neg_hi:[0,0,1]
	v_pk_fma_f32 v[112:113], v[42:43], v[6:7], v[122:123] neg_lo:[0,0,1] neg_hi:[0,0,1]
	v_pk_fma_f32 v[122:123], v[36:37], v[16:17], v[124:125] neg_lo:[0,0,1] neg_hi:[0,0,1]
	v_pk_fma_f32 v[124:125], v[50:51], v[26:27], v[158:159] neg_lo:[0,0,1] neg_hi:[0,0,1]
	v_fma_f32 v32, v110, 2.0, -v156
	v_pk_fma_f32 v[110:111], v[38:39], v[16:17], v[40:41]
	v_pk_fma_f32 v[40:41], v[38:39], v[128:129], v[40:41] neg_lo:[0,0,1] neg_hi:[0,0,1]
	v_pk_add_f32 v[124:125], v[54:55], v[124:125] neg_lo:[0,1] neg_hi:[0,1]
	v_mov_b32_e32 v151, v153
	v_mov_b32_e32 v111, v41
	v_mov_b32_e32 v40, v107
	v_mov_b32_e32 v41, v52
	v_mov_b32_e32 v135, v137
	v_add_f32_e32 v125, v52, v52
	v_pk_add_f32 v[150:151], v[40:41], v[150:151] neg_lo:[0,1] neg_hi:[0,1]
	v_mov_b32_e32 v123, 2.0
	v_fma_f32 v55, v54, 2.0, -v124
	v_pk_add_f32 v[128:129], v[116:117], v[122:123] op_sel_hi:[0,1] neg_lo:[0,1] neg_hi:[0,1]
	v_pk_mul_f32 v[40:41], v[116:117], v[122:123] op_sel_hi:[0,1]
	v_pk_add_f32 v[122:123], v[134:135], v[110:111] neg_lo:[0,1] neg_hi:[0,1]
	v_add_f32_e32 v155, v137, v137
	v_pk_add_f32 v[116:117], v[124:125], v[150:151]
	v_pk_add_f32 v[114:115], v[124:125], v[150:151] neg_lo:[0,1] neg_hi:[0,1]
	v_mov_b32_e32 v124, v51
	v_mov_b32_e32 v51, v102
	v_mov_b32_e32 v136, v27
	v_mov_b32_e32 v137, v15
	v_fma_f32 v45, v134, 2.0, -v122
	v_mov_b32_e32 v125, v30
	v_mov_b32_e32 v134, v26
	;; [unrolled: 1-line block ×3, first 2 shown]
	v_pk_mul_f32 v[50:51], v[50:51], v[136:137]
	v_mov_b32_e32 v131, v106
	v_pk_fma_f32 v[136:137], v[124:125], v[26:27], v[50:51]
	v_pk_fma_f32 v[50:51], v[124:125], v[134:135], v[50:51] neg_lo:[0,0,1] neg_hi:[0,0,1]
	v_mov_b32_e32 v124, v7
	v_mov_b32_e32 v137, v51
	v_pk_add_f32 v[134:135], v[130:131], v[136:137] neg_lo:[0,1] neg_hi:[0,1]
	v_mov_b32_e32 v125, v3
	v_mov_b32_e32 v120, v135
	v_fma_f32 v53, v107, 2.0, -v150
	v_mov_b32_e32 v129, v41
	v_sub_f32_e32 v41, v45, v32
	v_pk_add_f32 v[106:107], v[120:121], v[134:135] neg_lo:[0,1] neg_hi:[0,1]
	v_mov_b32_e32 v120, v6
	v_mov_b32_e32 v121, v2
	v_pk_mul_f32 v[42:43], v[42:43], v[124:125]
	v_mov_b32_e32 v32, v29
	v_mov_b32_e32 v29, v105
	;; [unrolled: 1-line block ×4, first 2 shown]
	v_fma_f32 v30, v130, 2.0, -v134
	v_pk_fma_f32 v[42:43], v[48:49], v[120:121], v[42:43]
	v_mov_b32_e32 v48, v12
	v_mov_b32_e32 v49, v8
	v_pk_mul_f32 v[28:29], v[28:29], v[104:105]
	v_pk_fma_f32 v[126:127], v[46:47], v[22:23], v[162:163] neg_lo:[0,0,1] neg_hi:[0,0,1]
	v_sub_f32_e32 v51, v53, v30
	v_pk_fma_f32 v[28:29], v[32:33], v[48:49], v[28:29]
	v_mov_b32_e32 v30, v47
	v_mov_b32_e32 v47, v103
	;; [unrolled: 1-line block ×6, first 2 shown]
	v_pk_mul_f32 v[46:47], v[46:47], v[48:49]
	v_mov_b32_e32 v36, v109
	v_mov_b32_e32 v109, v39
	;; [unrolled: 1-line block ×4, first 2 shown]
	v_pk_add_f32 v[126:127], v[112:113], v[126:127] neg_lo:[0,1] neg_hi:[0,1]
	v_pk_fma_f32 v[30:31], v[30:31], v[32:33], v[46:47]
	v_mov_b32_e32 v32, v100
	v_mov_b32_e32 v33, v24
	v_pk_mul_f32 v[38:39], v[108:109], v[38:39]
	v_mov_b32_e32 v46, v151
	v_pk_fma_f32 v[36:37], v[36:37], v[32:33], v[38:39]
	v_pk_add_f32 v[38:39], v[42:43], v[30:31] neg_lo:[0,1] neg_hi:[0,1]
	v_mov_b32_e32 v47, v126
	v_mov_b32_e32 v157, v128
	v_fma_f32 v33, v43, 2.0, -v39
	v_fma_f32 v30, v42, 2.0, -v38
	v_pk_add_f32 v[42:43], v[28:29], v[36:37] neg_lo:[0,1] neg_hi:[0,1]
	v_pk_add_f32 v[48:49], v[46:47], v[38:39]
	v_pk_add_f32 v[102:103], v[46:47], v[38:39] neg_lo:[0,1] neg_hi:[0,1]
	v_mov_b32_e32 v46, v123
	v_mov_b32_e32 v47, v44
	v_fma_f32 v127, v112, 2.0, -v126
	v_fma_f32 v153, v118, 2.0, -v44
	v_pk_add_f32 v[112:113], v[128:129], v[156:157] neg_lo:[0,1] neg_hi:[0,1]
	v_pk_add_f32 v[118:119], v[154:155], v[122:123]
	v_mov_b32_e32 v103, v49
	v_mul_f32_e32 v126, 0x3f3504f3, v49
	v_pk_add_f32 v[48:49], v[46:47], v[42:43]
	v_pk_add_f32 v[104:105], v[46:47], v[42:43] neg_lo:[0,1] neg_hi:[0,1]
	v_pk_add_f32 v[110:111], v[154:155], v[122:123] neg_lo:[0,1] neg_hi:[0,1]
	v_fma_f32 v28, v28, 2.0, -v42
	v_mov_b32_e32 v105, v49
	v_mov_b32_e32 v129, v122
	;; [unrolled: 1-line block ×6, first 2 shown]
	v_mul_f32_e32 v152, 0x3f3504f3, v49
	v_pk_fma_f32 v[46:47], v[128:129], 2.0, v[46:47] op_sel_hi:[1,0,1] neg_lo:[0,0,1] neg_hi:[0,0,1]
	v_pk_fma_f32 v[48:49], v[42:43], 2.0, v[104:105] op_sel_hi:[1,0,1] neg_lo:[0,0,1] neg_hi:[0,0,1]
	v_mul_f32_e32 v132, 0x3f3504f3, v104
	v_pk_mul_f32 v[108:109], v[48:49], s[10:11] op_sel_hi:[1,0]
	v_pk_fma_f32 v[48:49], v[48:49], s[10:11], v[46:47] op_sel_hi:[1,0,1] neg_lo:[1,0,0] neg_hi:[1,0,0]
	v_pk_add_f32 v[104:105], v[118:119], v[152:153]
	v_pk_add_f32 v[124:125], v[110:111], v[152:153] neg_lo:[0,1] neg_hi:[0,1]
	v_pk_add_f32 v[130:131], v[48:49], v[108:109] op_sel:[0,1] op_sel_hi:[1,0]
	v_pk_add_f32 v[128:129], v[48:49], v[108:109] op_sel:[0,1] op_sel_hi:[1,0] neg_lo:[0,1] neg_hi:[0,1]
	v_pk_add_f32 v[48:49], v[112:113], v[132:133]
	v_pk_add_f32 v[122:123], v[112:113], v[132:133] neg_lo:[0,1] neg_hi:[0,1]
	v_mov_b32_e32 v105, v125
	v_mov_b32_e32 v133, v41
	;; [unrolled: 1-line block ×3, first 2 shown]
	v_pk_add_f32 v[108:109], v[132:133], v[104:105]
	v_mov_b32_e32 v132, v135
	v_mov_b32_e32 v133, v150
	;; [unrolled: 1-line block ×4, first 2 shown]
	v_pk_fma_f32 v[38:39], v[38:39], 2.0, v[102:103] op_sel_hi:[1,0,1] neg_lo:[0,0,1] neg_hi:[0,0,1]
	v_pk_fma_f32 v[132:133], v[132:133], 2.0, v[134:135] op_sel_hi:[1,0,1] neg_lo:[0,0,1] neg_hi:[0,0,1]
	v_fma_f32 v29, v29, 2.0, -v43
	v_pk_mul_f32 v[120:121], v[38:39], s[10:11] op_sel_hi:[1,0]
	v_pk_fma_f32 v[38:39], v[38:39], s[10:11], v[132:133] op_sel_hi:[1,0,1] neg_lo:[1,0,0] neg_hi:[1,0,0]
	v_sub_f32_e32 v31, v29, v28
	v_pk_add_f32 v[134:135], v[38:39], v[120:121] op_sel:[0,1] op_sel_hi:[1,0]
	v_pk_add_f32 v[38:39], v[38:39], v[120:121] op_sel:[0,1] op_sel_hi:[1,0] neg_lo:[0,1] neg_hi:[0,1]
	v_mov_b32_e32 v114, v116
	v_mul_f32_e32 v54, 0x3f3504f3, v102
	v_mov_b32_e32 v129, v131
	v_mov_b32_e32 v49, v123
	;; [unrolled: 1-line block ×4, first 2 shown]
	v_sub_f32_e32 v37, v33, v30
	v_pk_add_f32 v[102:103], v[116:117], v[126:127]
	v_pk_add_f32 v[42:43], v[114:115], v[126:127] neg_lo:[0,1] neg_hi:[0,1]
	v_pk_add_f32 v[48:49], v[48:49], v[152:153] neg_lo:[0,1] neg_hi:[0,1]
	v_pk_fma_f32 v[150:151], v[128:129], s[14:15], v[38:39] op_sel_hi:[1,0,1]
	s_mov_b32 s15, s10
	v_pk_add_f32 v[120:121], v[106:107], v[54:55]
	v_pk_add_f32 v[136:137], v[106:107], v[54:55] neg_lo:[0,1] neg_hi:[0,1]
	v_mov_b32_e32 v103, v43
	v_pk_mul_f32 v[104:105], v[128:129], s[16:17] op_sel_hi:[1,0]
	v_pk_mul_f32 v[152:153], v[48:49], s[14:15]
	s_mov_b32 s17, s10
	v_mov_b32_e32 v121, v137
	v_mov_b32_e32 v127, v37
	;; [unrolled: 1-line block ×3, first 2 shown]
	v_pk_mul_f32 v[154:155], v[108:109], s[16:17]
	v_mul_f32_e32 v152, 0x3f6c835e, v48
	v_pk_add_f32 v[120:121], v[120:121], v[126:127] neg_lo:[0,1] neg_hi:[0,1]
	v_pk_add_f32 v[126:127], v[54:55], v[102:103]
	v_pk_add_f32 v[102:103], v[150:151], v[104:105] op_sel:[0,1] op_sel_hi:[1,0]
	v_pk_add_f32 v[54:55], v[150:151], v[104:105] op_sel:[0,1] op_sel_hi:[1,0] neg_lo:[0,1] neg_hi:[0,1]
	v_pk_fma_f32 v[104:105], v[108:109], s[16:17], v[126:127]
	v_mov_b32_e32 v55, v103
	v_pk_add_f32 v[102:103], v[120:121], v[152:153]
	v_mul_f32_e32 v154, 0x3ec3ef15, v108
	v_pk_add_f32 v[102:103], v[102:103], v[154:155] neg_lo:[0,1] neg_hi:[0,1]
	v_pk_fma_f32 v[104:105], v[48:49], s[14:15], v[104:105]
	s_and_saveexec_b64 s[14:15], s[0:1]
	s_cbranch_execz .LBB0_11
; %bb.10:
	v_fma_f32 v28, v116, 2.0, -v126
	v_fma_f32 v30, v118, 2.0, -v108
	v_fmamk_f32 v117, v30, 0xbec3ef15, v28
	v_fma_f32 v32, v112, 2.0, -v48
	v_fmac_f32_e32 v117, 0x3f6c835e, v32
	v_fma_f32 v119, v28, 2.0, -v117
	v_fma_f32 v28, v106, 2.0, -v120
	v_fmamk_f32 v116, v32, 0xbec3ef15, v28
	v_fmac_f32_e32 v116, 0xbf6c835e, v30
	v_fma_f32 v118, v28, 2.0, -v116
	v_fma_f32 v28, v133, 2.0, -v135
	;; [unrolled: 1-line block ×3, first 2 shown]
	v_fmamk_f32 v47, v30, 0xbf6c835e, v28
	v_fma_f32 v32, v46, 2.0, -v128
	v_fmac_f32_e32 v47, 0x3ec3ef15, v32
	v_fma_f32 v129, v28, 2.0, -v47
	v_fma_f32 v28, v132, 2.0, -v38
	v_fmamk_f32 v46, v32, 0xbf6c835e, v28
	v_fmac_f32_e32 v46, 0xbec3ef15, v30
	v_fma_f32 v128, v28, 2.0, -v46
	v_mov_b32_e32 v52, v107
	v_mov_b32_e32 v50, v137
	v_mov_b32_e32 v32, v115
	v_mov_b32_e32 v36, v43
	v_mov_b32_e32 v44, v113
	v_mov_b32_e32 v40, v123
	v_mov_b32_e32 v28, v111
	v_mov_b32_e32 v30, v125
	v_pk_fma_f32 v[52:53], v[52:53], 2.0, v[50:51] op_sel_hi:[1,0,1] neg_lo:[0,0,1] neg_hi:[0,0,1]
	v_pk_fma_f32 v[32:33], v[32:33], 2.0, v[36:37] op_sel_hi:[1,0,1] neg_lo:[0,0,1] neg_hi:[0,0,1]
	;; [unrolled: 1-line block ×4, first 2 shown]
	v_pk_add_f32 v[32:33], v[52:53], v[32:33] neg_lo:[0,1] neg_hi:[0,1]
	v_pk_add_f32 v[28:29], v[36:37], v[28:29] neg_lo:[0,1] neg_hi:[0,1]
	v_pk_fma_f32 v[30:31], v[52:53], 2.0, v[32:33] op_sel_hi:[1,0,1] neg_lo:[0,0,1] neg_hi:[0,0,1]
	v_pk_fma_f32 v[36:37], v[36:37], 2.0, v[28:29] op_sel_hi:[1,0,1] neg_lo:[0,0,1] neg_hi:[0,0,1]
	v_mov_b32_e32 v108, v49
	v_pk_add_f32 v[36:37], v[30:31], v[36:37] neg_lo:[0,1] neg_hi:[0,1]
	v_mov_b32_e32 v42, v121
	v_pk_fma_f32 v[30:31], v[30:31], 2.0, v[36:37] op_sel_hi:[1,0,1] neg_lo:[0,0,1] neg_hi:[0,0,1]
	v_mov_b32_e32 v43, v127
	ds_write_b64 v139, v[30:31]
	v_pk_fma_f32 v[30:31], v[40:41], 2.0, v[108:109] op_sel_hi:[1,0,1] neg_lo:[0,0,1] neg_hi:[0,0,1]
	v_pk_fma_f32 v[44:45], v[50:51], 2.0, v[42:43] op_sel_hi:[1,0,1] neg_lo:[0,0,1] neg_hi:[0,0,1]
	v_pk_mul_f32 v[40:41], v[30:31], s[10:11] op_sel_hi:[1,0]
	v_pk_fma_f32 v[30:31], v[30:31], s[10:11], v[44:45] op_sel_hi:[1,0,1] neg_lo:[1,0,0] neg_hi:[1,0,0]
	v_mov_b32_e32 v121, v126
	v_pk_add_f32 v[48:49], v[30:31], v[40:41] op_sel:[0,1] op_sel_hi:[1,0] neg_lo:[0,1] neg_hi:[0,1]
	v_pk_add_f32 v[30:31], v[30:31], v[40:41] op_sel:[0,1] op_sel_hi:[1,0]
	s_nop 0
	v_mov_b32_e32 v49, v31
	v_pk_fma_f32 v[30:31], v[44:45], 2.0, v[48:49] op_sel_hi:[1,0,1] neg_lo:[0,0,1] neg_hi:[0,0,1]
	ds_write2_b64 v138, v[128:129], v[30:31] offset0:26 offset1:52
	v_pk_add_f32 v[30:31], v[32:33], v[28:29] op_sel:[0,1] op_sel_hi:[1,0] neg_lo:[0,1] neg_hi:[0,1]
	v_pk_add_f32 v[28:29], v[32:33], v[28:29] op_sel:[0,1] op_sel_hi:[1,0]
	s_nop 0
	v_mov_b32_e32 v31, v29
	v_pk_fma_f32 v[28:29], v[32:33], 2.0, v[30:31] op_sel_hi:[1,0,1] neg_lo:[0,0,1] neg_hi:[0,0,1]
	v_mov_b32_e32 v32, v103
	v_mov_b32_e32 v33, v105
	ds_write2_b64 v138, v[118:119], v[28:29] offset0:78 offset1:104
	v_pk_fma_f32 v[28:29], v[38:39], 2.0, v[54:55] op_sel_hi:[1,0,1] neg_lo:[0,0,1] neg_hi:[0,0,1]
	v_pk_fma_f32 v[38:39], v[42:43], 2.0, v[32:33] op_sel_hi:[1,0,1] neg_lo:[0,0,1] neg_hi:[0,0,1]
	ds_write2_b64 v138, v[28:29], v[38:39] offset0:130 offset1:156
	v_mov_b32_e32 v28, v102
	v_mov_b32_e32 v29, v104
	v_pk_fma_f32 v[38:39], v[120:121], 2.0, v[28:29] op_sel_hi:[1,0,1] neg_lo:[0,0,1] neg_hi:[0,0,1]
	ds_write2_b64 v138, v[38:39], v[36:37] offset0:182 offset1:208
	v_add_u32_e32 v36, 0x400, v138
	ds_write2_b64 v36, v[46:47], v[48:49] offset0:106 offset1:132
	v_add_u32_e32 v36, 0x800, v138
	ds_write2_b64 v36, v[116:117], v[30:31] offset0:30 offset1:56
	ds_write2_b64 v36, v[54:55], v[32:33] offset0:82 offset1:108
	ds_write_b64 v138, v[28:29] offset:3120
.LBB0_11:
	s_or_b64 exec, exec, s[14:15]
	s_waitcnt lgkmcnt(0)
	; wave barrier
	s_waitcnt lgkmcnt(0)
	global_load_dwordx2 v[28:29], v[34:35], off offset:3328
	s_add_u32 s8, s8, 0xd00
	s_addc_u32 s9, s9, 0
	global_load_dwordx2 v[50:51], v84, s[8:9] offset:256
	global_load_dwordx2 v[52:53], v84, s[8:9] offset:512
	;; [unrolled: 1-line block ×12, first 2 shown]
	ds_read_b64 v[30:31], v139
	v_lshlrev_b32_e32 v133, 3, v141
	v_mov_b32_e32 v36, v98
	v_mov_b32_e32 v37, v98
	v_add_u32_e32 v98, 0x800, v138
	v_add_u32_e32 v132, v133, v84
	s_mov_b32 s26, 0xbf52af12
	s_mov_b32 s40, 0xbeedf032
	;; [unrolled: 1-line block ×16, first 2 shown]
	s_waitcnt vmcnt(12) lgkmcnt(0)
	v_mul_f32_e32 v32, v31, v29
	v_mul_f32_e32 v33, v30, v29
	v_fma_f32 v32, v30, v28, -v32
	v_fmac_f32_e32 v33, v31, v28
	ds_write_b64 v139, v[32:33]
	ds_read2_b64 v[28:31], v138 offset0:32 offset1:64
	ds_read2_b64 v[32:35], v138 offset0:96 offset1:128
	;; [unrolled: 1-line block ×3, first 2 shown]
	ds_read2_b64 v[42:45], v98 offset1:32
	ds_read2_b64 v[46:49], v98 offset0:64 offset1:96
	ds_read_b64 v[84:85], v132 offset:1536
	ds_read_b64 v[126:127], v138 offset:3072
	s_waitcnt vmcnt(11) lgkmcnt(6)
	v_mul_f32_e32 v128, v29, v51
	v_mul_f32_e32 v129, v28, v51
	s_waitcnt vmcnt(10)
	v_mul_f32_e32 v130, v31, v53
	v_mul_f32_e32 v51, v30, v53
	s_waitcnt vmcnt(9) lgkmcnt(5)
	v_mul_f32_e32 v131, v33, v107
	v_mul_f32_e32 v53, v32, v107
	s_waitcnt vmcnt(8)
	v_mul_f32_e32 v134, v35, v109
	v_mul_f32_e32 v107, v34, v109
	s_waitcnt vmcnt(7) lgkmcnt(4)
	v_mul_f32_e32 v135, v39, v111
	v_mul_f32_e32 v109, v38, v111
	s_waitcnt vmcnt(6) lgkmcnt(1)
	v_mul_f32_e32 v136, v85, v113
	v_mul_f32_e32 v111, v84, v113
	s_waitcnt vmcnt(5)
	v_mul_f32_e32 v137, v41, v115
	v_mul_f32_e32 v113, v40, v115
	s_waitcnt vmcnt(4)
	;; [unrolled: 3-line block ×5, first 2 shown]
	v_mul_f32_e32 v152, v49, v123
	v_mul_f32_e32 v121, v48, v123
	s_waitcnt vmcnt(0) lgkmcnt(0)
	v_mul_f32_e32 v153, v127, v125
	v_mul_f32_e32 v123, v126, v125
	v_fma_f32 v128, v28, v50, -v128
	v_fmac_f32_e32 v129, v29, v50
	v_fma_f32 v50, v30, v52, -v130
	v_fmac_f32_e32 v51, v31, v52
	;; [unrolled: 2-line block ×12, first 2 shown]
	ds_write2_b64 v138, v[128:129], v[50:51] offset0:32 offset1:64
	ds_write2_b64 v138, v[52:53], v[106:107] offset0:96 offset1:128
	ds_write_b64 v132, v[110:111] offset:1536
	ds_write2_b64 v138, v[108:109], v[112:113] offset0:160 offset1:224
	ds_write2_b64 v98, v[114:115], v[116:117] offset1:32
	ds_write2_b64 v98, v[118:119], v[120:121] offset0:64 offset1:96
	ds_write_b64 v138, v[122:123] offset:3072
	s_waitcnt lgkmcnt(0)
	; wave barrier
	s_waitcnt lgkmcnt(0)
	ds_read_b64 v[28:29], v139
	ds_read2_b64 v[124:127], v138 offset0:96 offset1:128
	ds_read2_b64 v[134:137], v138 offset0:32 offset1:64
	ds_read_b64 v[84:85], v132 offset:1536
	ds_read_b64 v[162:163], v138 offset:3072
	ds_read2_b64 v[150:153], v138 offset0:160 offset1:224
	ds_read2_b64 v[154:157], v98 offset1:32
	ds_read2_b64 v[158:161], v98 offset0:64 offset1:96
	s_waitcnt lgkmcnt(5)
	v_pk_add_f32 v[164:165], v[28:29], v[134:135]
	s_waitcnt lgkmcnt(3)
	v_pk_add_f32 v[106:107], v[134:135], v[162:163] neg_lo:[0,1] neg_hi:[0,1]
	s_waitcnt lgkmcnt(2)
	v_pk_add_f32 v[122:123], v[152:153], v[84:85]
	v_pk_add_f32 v[130:131], v[84:85], v[152:153] neg_lo:[0,1] neg_hi:[0,1]
	s_waitcnt lgkmcnt(0)
	v_pk_add_f32 v[108:109], v[160:161], v[136:137]
	v_pk_add_f32 v[110:111], v[136:137], v[160:161] neg_lo:[0,1] neg_hi:[0,1]
	v_pk_add_f32 v[136:137], v[164:165], v[136:137]
	v_pk_add_f32 v[112:113], v[158:159], v[124:125]
	v_pk_add_f32 v[114:115], v[124:125], v[158:159] neg_lo:[0,1] neg_hi:[0,1]
	v_pk_add_f32 v[124:125], v[136:137], v[124:125]
	v_pk_add_f32 v[52:53], v[162:163], v[134:135]
	;; [unrolled: 1-line block ×3, first 2 shown]
	v_pk_mul_f32 v[30:31], v[106:107], s[26:27] op_sel_hi:[1,0]
	v_pk_add_f32 v[124:125], v[124:125], v[150:151]
	v_pk_fma_f32 v[32:33], v[52:53], s[8:9], v[30:31] op_sel:[0,0,1] op_sel_hi:[1,0,0]
	v_pk_add_f32 v[84:85], v[124:125], v[84:85]
	v_pk_fma_f32 v[30:31], v[52:53], s[8:9], v[30:31] op_sel:[0,0,1] op_sel_hi:[1,0,0] neg_lo:[0,0,1] neg_hi:[0,0,1]
	v_pk_add_f32 v[84:85], v[84:85], v[152:153]
	v_mov_b32_e32 v134, v32
	v_pk_add_f32 v[84:85], v[84:85], v[154:155]
	v_mov_b32_e32 v135, v31
	v_pk_add_f32 v[84:85], v[84:85], v[156:157]
	v_pk_add_f32 v[116:117], v[156:157], v[126:127]
	v_pk_add_f32 v[84:85], v[84:85], v[158:159]
	v_pk_add_f32 v[118:119], v[126:127], v[156:157] neg_lo:[0,1] neg_hi:[0,1]
	v_pk_add_f32 v[84:85], v[84:85], v[160:161]
	v_pk_add_f32 v[120:121], v[154:155], v[150:151]
	;; [unrolled: 1-line block ×3, first 2 shown]
	v_mov_b32_e32 v84, v52
	v_mov_b32_e32 v85, v106
	v_pk_add_f32 v[128:129], v[150:151], v[154:155] neg_lo:[0,1] neg_hi:[0,1]
	v_mov_b32_e32 v150, v107
	v_mov_b32_e32 v151, v53
	v_pk_mul_f32 v[152:153], v[84:85], s[30:31]
	v_mov_b32_e32 v126, v108
	v_mov_b32_e32 v127, v110
	s_mov_b32 s9, s26
	v_pk_fma_f32 v[84:85], v[150:151], s[40:41], v[152:153] neg_lo:[1,0,0] neg_hi:[1,0,0]
	v_pk_fma_f32 v[154:155], v[150:151], s[40:41], v[152:153]
	v_pk_add_f32 v[124:125], v[28:29], v[134:135]
	v_mov_b32_e32 v134, v111
	v_mov_b32_e32 v135, v109
	s_mov_b32 s27, s8
	v_pk_mul_f32 v[156:157], v[126:127], s[8:9]
	v_mov_b32_e32 v85, v155
	v_pk_fma_f32 v[126:127], v[134:135], s[26:27], v[156:157] neg_lo:[1,0,0] neg_hi:[1,0,0]
	v_pk_fma_f32 v[158:159], v[134:135], s[26:27], v[156:157]
	v_pk_mul_f32 v[48:49], v[128:129], s[18:19] op_sel_hi:[1,0]
	v_pk_add_f32 v[84:85], v[28:29], v[84:85]
	v_mov_b32_e32 v127, v159
	v_pk_fma_f32 v[50:51], v[120:121], s[16:17], v[48:49] op_sel:[0,0,1] op_sel_hi:[1,0,0]
	v_pk_fma_f32 v[48:49], v[120:121], s[16:17], v[48:49] op_sel:[0,0,1] op_sel_hi:[1,0,0] neg_lo:[0,0,1] neg_hi:[0,0,1]
	v_pk_add_f32 v[84:85], v[126:127], v[84:85]
	v_mov_b32_e32 v126, v112
	v_mov_b32_e32 v127, v114
	s_mov_b32 s17, s38
	v_pk_mul_f32 v[34:35], v[110:111], s[14:15] op_sel_hi:[1,0]
	v_mov_b32_e32 v160, v115
	v_mov_b32_e32 v161, v113
	v_pk_mul_f32 v[162:163], v[126:127], s[16:17]
	v_pk_fma_f32 v[38:39], v[108:109], s[10:11], v[34:35] op_sel:[0,0,1] op_sel_hi:[1,0,0]
	v_pk_fma_f32 v[34:35], v[108:109], s[10:11], v[34:35] op_sel:[0,0,1] op_sel_hi:[1,0,0] neg_lo:[0,0,1] neg_hi:[0,0,1]
	v_pk_mul_f32 v[40:41], v[114:115], s[24:25] op_sel_hi:[1,0]
	v_pk_fma_f32 v[126:127], v[160:161], s[38:39], v[162:163] neg_lo:[1,0,0] neg_hi:[1,0,0]
	v_pk_fma_f32 v[164:165], v[160:161], s[38:39], v[162:163]
	v_mov_b32_e32 v166, v38
	v_mov_b32_e32 v167, v35
	v_pk_fma_f32 v[42:43], v[112:113], s[20:21], v[40:41] op_sel:[0,0,1] op_sel_hi:[1,0,0]
	v_pk_fma_f32 v[40:41], v[112:113], s[20:21], v[40:41] op_sel:[0,0,1] op_sel_hi:[1,0,0] neg_lo:[0,0,1] neg_hi:[0,0,1]
	v_mov_b32_e32 v127, v165
	v_mov_b32_e32 v168, v42
	;; [unrolled: 1-line block ×3, first 2 shown]
	v_pk_add_f32 v[124:125], v[166:167], v[124:125]
	v_pk_add_f32 v[84:85], v[126:127], v[84:85]
	v_mov_b32_e32 v126, v116
	v_mov_b32_e32 v127, v118
	s_mov_b32 s11, s14
	v_pk_mul_f32 v[44:45], v[118:119], s[28:29] op_sel_hi:[1,0]
	v_pk_add_f32 v[124:125], v[168:169], v[124:125]
	v_mov_b32_e32 v166, v119
	v_mov_b32_e32 v167, v117
	s_mov_b32 s15, s10
	v_pk_mul_f32 v[168:169], v[126:127], s[10:11]
	v_pk_fma_f32 v[150:151], v[150:151], s[40:41], v[152:153] neg_lo:[0,0,1] neg_hi:[0,0,1]
	v_pk_fma_f32 v[46:47], v[116:117], s[22:23], v[44:45] op_sel:[0,0,1] op_sel_hi:[1,0,0]
	v_pk_fma_f32 v[44:45], v[116:117], s[22:23], v[44:45] op_sel:[0,0,1] op_sel_hi:[1,0,0] neg_lo:[0,0,1] neg_hi:[0,0,1]
	v_pk_fma_f32 v[126:127], v[166:167], s[14:15], v[168:169] neg_lo:[1,0,0] neg_hi:[1,0,0]
	v_pk_fma_f32 v[174:175], v[166:167], s[14:15], v[168:169]
	v_mov_b32_e32 v155, v151
	v_pk_fma_f32 v[134:135], v[134:135], s[26:27], v[156:157] neg_lo:[0,0,1] neg_hi:[0,0,1]
	v_mov_b32_e32 v170, v46
	v_mov_b32_e32 v171, v45
	v_mov_b32_e32 v127, v175
	s_mov_b32 s30, 0xbf29c268
	v_pk_add_f32 v[150:151], v[28:29], v[154:155]
	v_mov_b32_e32 v159, v135
	v_mov_b32_e32 v172, v50
	v_mov_b32_e32 v173, v49
	v_pk_add_f32 v[84:85], v[126:127], v[84:85]
	v_pk_add_f32 v[124:125], v[170:171], v[124:125]
	v_mov_b32_e32 v126, v120
	v_mov_b32_e32 v127, v128
	s_mov_b32 s23, s30
	v_pk_add_f32 v[134:135], v[158:159], v[150:151]
	v_pk_fma_f32 v[150:151], v[160:161], s[38:39], v[162:163] neg_lo:[0,0,1] neg_hi:[0,0,1]
	v_mov_b32_e32 v170, v129
	v_mov_b32_e32 v171, v121
	s_mov_b32 s31, s22
	v_pk_mul_f32 v[176:177], v[126:127], s[22:23]
	v_pk_add_f32 v[172:173], v[172:173], v[124:125]
	v_mov_b32_e32 v124, v122
	v_mov_b32_e32 v125, v130
	s_mov_b32 s21, s24
	v_mov_b32_e32 v165, v151
	v_pk_fma_f32 v[150:151], v[166:167], s[14:15], v[168:169] neg_lo:[0,0,1] neg_hi:[0,0,1]
	v_pk_fma_f32 v[126:127], v[170:171], s[30:31], v[176:177] neg_lo:[1,0,0] neg_hi:[1,0,0]
	v_pk_fma_f32 v[178:179], v[170:171], s[30:31], v[176:177]
	v_mov_b32_e32 v180, v131
	v_mov_b32_e32 v181, v123
	s_mov_b32 s25, s20
	v_pk_mul_f32 v[182:183], v[124:125], s[20:21]
	v_pk_add_f32 v[134:135], v[164:165], v[134:135]
	v_mov_b32_e32 v175, v151
	v_pk_fma_f32 v[150:151], v[170:171], s[30:31], v[176:177] neg_lo:[0,0,1] neg_hi:[0,0,1]
	v_mov_b32_e32 v127, v179
	v_pk_fma_f32 v[124:125], v[180:181], s[24:25], v[182:183] neg_lo:[1,0,0] neg_hi:[1,0,0]
	v_pk_fma_f32 v[184:185], v[180:181], s[24:25], v[182:183]
	v_pk_add_f32 v[134:135], v[174:175], v[134:135]
	v_mov_b32_e32 v179, v151
	v_pk_fma_f32 v[150:151], v[180:181], s[24:25], v[182:183] neg_lo:[0,0,1] neg_hi:[0,0,1]
	v_mov_b32_e32 v125, v185
	v_pk_add_f32 v[134:135], v[178:179], v[134:135]
	v_mov_b32_e32 v185, v151
	v_pk_add_f32 v[134:135], v[184:185], v[134:135]
	s_waitcnt lgkmcnt(0)
	; wave barrier
	ds_write2_b64 v140, v[136:137], v[134:135] offset1:1
	v_pk_mul_f32 v[134:135], v[106:107], s[38:39] op_sel_hi:[1,0]
	v_pk_mul_f32 v[152:153], v[110:111], s[24:25] op_sel_hi:[1,0]
	v_pk_fma_f32 v[136:137], v[52:53], s[16:17], v[134:135] op_sel:[0,0,1] op_sel_hi:[1,0,0]
	v_pk_fma_f32 v[134:135], v[52:53], s[16:17], v[134:135] op_sel:[0,0,1] op_sel_hi:[1,0,0] neg_lo:[0,0,1] neg_hi:[0,0,1]
	s_mov_b32 s40, 0x3f6f5d39
	v_mov_b32_e32 v150, v136
	v_mov_b32_e32 v151, v135
	v_pk_fma_f32 v[154:155], v[108:109], s[20:21], v[152:153] op_sel:[0,0,1] op_sel_hi:[1,0,0]
	v_pk_fma_f32 v[152:153], v[108:109], s[20:21], v[152:153] op_sel:[0,0,1] op_sel_hi:[1,0,0] neg_lo:[0,0,1] neg_hi:[0,0,1]
	v_pk_mul_f32 v[158:159], v[114:115], s[40:41] op_sel_hi:[1,0]
	v_mov_b32_e32 v156, v154
	v_mov_b32_e32 v157, v153
	v_pk_fma_f32 v[160:161], v[112:113], s[10:11], v[158:159] op_sel:[0,0,1] op_sel_hi:[1,0,0]
	v_pk_fma_f32 v[158:159], v[112:113], s[10:11], v[158:159] op_sel:[0,0,1] op_sel_hi:[1,0,0] neg_lo:[0,0,1] neg_hi:[0,0,1]
	v_pk_mul_f32 v[164:165], v[118:119], s[36:37] op_sel_hi:[1,0]
	v_pk_add_f32 v[150:151], v[28:29], v[150:151]
	v_mov_b32_e32 v162, v160
	v_mov_b32_e32 v163, v159
	v_pk_fma_f32 v[166:167], v[116:117], s[34:35], v[164:165] op_sel:[0,0,1] op_sel_hi:[1,0,0]
	v_pk_fma_f32 v[164:165], v[116:117], s[34:35], v[164:165] op_sel:[0,0,1] op_sel_hi:[1,0,0] neg_lo:[0,0,1] neg_hi:[0,0,1]
	v_pk_mul_f32 v[170:171], v[128:129], s[26:27] op_sel_hi:[1,0]
	v_pk_add_f32 v[150:151], v[156:157], v[150:151]
	v_pk_add_f32 v[84:85], v[126:127], v[84:85]
	v_pk_mul_f32 v[126:127], v[130:131], s[36:37] op_sel_hi:[1,0]
	v_mov_b32_e32 v168, v166
	v_mov_b32_e32 v169, v165
	v_pk_fma_f32 v[174:175], v[120:121], s[8:9], v[170:171] op_sel:[0,0,1] op_sel_hi:[1,0,0]
	v_pk_fma_f32 v[170:171], v[120:121], s[8:9], v[170:171] op_sel:[0,0,1] op_sel_hi:[1,0,0] neg_lo:[0,0,1] neg_hi:[0,0,1]
	v_pk_add_f32 v[150:151], v[162:163], v[150:151]
	v_pk_mul_f32 v[156:157], v[130:131], s[30:31] op_sel_hi:[1,0]
	v_pk_add_f32 v[84:85], v[124:125], v[84:85]
	v_pk_fma_f32 v[124:125], v[122:123], s[34:35], v[126:127] op_sel:[0,0,1] op_sel_hi:[1,0,0]
	v_pk_fma_f32 v[126:127], v[122:123], s[34:35], v[126:127] op_sel:[0,0,1] op_sel_hi:[1,0,0] neg_lo:[0,0,1] neg_hi:[0,0,1]
	v_mov_b32_e32 v176, v174
	v_mov_b32_e32 v177, v171
	v_pk_add_f32 v[150:151], v[168:169], v[150:151]
	v_pk_fma_f32 v[162:163], v[122:123], s[22:23], v[156:157] op_sel:[0,0,1] op_sel_hi:[1,0,0]
	v_pk_fma_f32 v[156:157], v[122:123], s[22:23], v[156:157] op_sel:[0,0,1] op_sel_hi:[1,0,0] neg_lo:[0,0,1] neg_hi:[0,0,1]
	v_mov_b32_e32 v186, v124
	v_mov_b32_e32 v187, v127
	v_pk_add_f32 v[150:151], v[176:177], v[150:151]
	v_mov_b32_e32 v168, v162
	v_mov_b32_e32 v169, v157
	v_pk_add_f32 v[172:173], v[186:187], v[172:173]
	v_pk_add_f32 v[150:151], v[168:169], v[150:151]
	ds_write2_b64 v140, v[172:173], v[150:151] offset0:2 offset1:3
	v_pk_mul_f32 v[150:151], v[106:107], s[14:15] op_sel_hi:[1,0]
	v_pk_mul_f32 v[176:177], v[110:111], s[28:29] op_sel_hi:[1,0]
	v_pk_fma_f32 v[168:169], v[52:53], s[10:11], v[150:151] op_sel:[0,0,1] op_sel_hi:[1,0,0]
	v_pk_fma_f32 v[150:151], v[52:53], s[10:11], v[150:151] op_sel:[0,0,1] op_sel_hi:[1,0,0] neg_lo:[0,0,1] neg_hi:[0,0,1]
	v_mov_b32_e32 v172, v168
	v_mov_b32_e32 v173, v151
	v_pk_fma_f32 v[178:179], v[108:109], s[22:23], v[176:177] op_sel:[0,0,1] op_sel_hi:[1,0,0]
	v_pk_fma_f32 v[176:177], v[108:109], s[22:23], v[176:177] op_sel:[0,0,1] op_sel_hi:[1,0,0] neg_lo:[0,0,1] neg_hi:[0,0,1]
	v_pk_mul_f32 v[182:183], v[114:115], s[36:37] op_sel_hi:[1,0]
	v_mov_b32_e32 v180, v178
	v_mov_b32_e32 v181, v177
	v_pk_fma_f32 v[184:185], v[112:113], s[34:35], v[182:183] op_sel:[0,0,1] op_sel_hi:[1,0,0]
	v_pk_fma_f32 v[182:183], v[112:113], s[34:35], v[182:183] op_sel:[0,0,1] op_sel_hi:[1,0,0] neg_lo:[0,0,1] neg_hi:[0,0,1]
	v_pk_mul_f32 v[188:189], v[118:119], s[38:39] op_sel_hi:[1,0]
	s_mov_b32 s28, 0x3e750f2a
	v_pk_add_f32 v[172:173], v[28:29], v[172:173]
	v_mov_b32_e32 v186, v184
	v_mov_b32_e32 v187, v183
	v_pk_fma_f32 v[190:191], v[116:117], s[16:17], v[188:189] op_sel:[0,0,1] op_sel_hi:[1,0,0]
	v_pk_fma_f32 v[188:189], v[116:117], s[16:17], v[188:189] op_sel:[0,0,1] op_sel_hi:[1,0,0] neg_lo:[0,0,1] neg_hi:[0,0,1]
	v_pk_mul_f32 v[194:195], v[128:129], s[28:29] op_sel_hi:[1,0]
	v_pk_add_f32 v[172:173], v[180:181], v[172:173]
	s_mov_b32 s38, 0x3f52af12
	v_mov_b32_e32 v192, v190
	v_mov_b32_e32 v193, v189
	v_pk_fma_f32 v[196:197], v[120:121], s[20:21], v[194:195] op_sel:[0,0,1] op_sel_hi:[1,0,0]
	v_pk_fma_f32 v[194:195], v[120:121], s[20:21], v[194:195] op_sel:[0,0,1] op_sel_hi:[1,0,0] neg_lo:[0,0,1] neg_hi:[0,0,1]
	v_pk_add_f32 v[172:173], v[186:187], v[172:173]
	v_pk_mul_f32 v[180:181], v[130:131], s[38:39] op_sel_hi:[1,0]
	v_mov_b32_e32 v198, v196
	v_mov_b32_e32 v199, v195
	v_pk_add_f32 v[172:173], v[192:193], v[172:173]
	v_pk_fma_f32 v[186:187], v[122:123], s[8:9], v[180:181] op_sel:[0,0,1] op_sel_hi:[1,0,0]
	v_pk_fma_f32 v[180:181], v[122:123], s[8:9], v[180:181] op_sel:[0,0,1] op_sel_hi:[1,0,0] neg_lo:[0,0,1] neg_hi:[0,0,1]
	v_pk_add_f32 v[172:173], v[198:199], v[172:173]
	v_mov_b32_e32 v192, v186
	v_mov_b32_e32 v193, v181
	v_pk_add_f32 v[172:173], v[192:193], v[172:173]
	v_pk_mul_f32 v[192:193], v[106:107], s[30:31] op_sel_hi:[1,0]
	v_pk_mul_f32 v[202:203], v[110:111], s[18:19] op_sel_hi:[1,0]
	v_pk_fma_f32 v[198:199], v[52:53], s[22:23], v[192:193] op_sel:[0,0,1] op_sel_hi:[1,0,0]
	v_pk_fma_f32 v[192:193], v[52:53], s[22:23], v[192:193] op_sel:[0,0,1] op_sel_hi:[1,0,0] neg_lo:[0,0,1] neg_hi:[0,0,1]
	v_mov_b32_e32 v200, v198
	v_mov_b32_e32 v201, v193
	v_pk_fma_f32 v[204:205], v[108:109], s[16:17], v[202:203] op_sel:[0,0,1] op_sel_hi:[1,0,0]
	v_pk_fma_f32 v[202:203], v[108:109], s[16:17], v[202:203] op_sel:[0,0,1] op_sel_hi:[1,0,0] neg_lo:[0,0,1] neg_hi:[0,0,1]
	v_pk_mul_f32 v[208:209], v[114:115], s[26:27] op_sel_hi:[1,0]
	v_mov_b32_e32 v206, v204
	v_mov_b32_e32 v207, v203
	v_pk_fma_f32 v[210:211], v[112:113], s[8:9], v[208:209] op_sel:[0,0,1] op_sel_hi:[1,0,0]
	v_pk_fma_f32 v[208:209], v[112:113], s[8:9], v[208:209] op_sel:[0,0,1] op_sel_hi:[1,0,0] neg_lo:[0,0,1] neg_hi:[0,0,1]
	v_pk_mul_f32 v[214:215], v[118:119], s[28:29] op_sel_hi:[1,0]
	v_pk_add_f32 v[200:201], v[28:29], v[200:201]
	v_mov_b32_e32 v212, v210
	v_mov_b32_e32 v213, v209
	v_pk_fma_f32 v[216:217], v[116:117], s[20:21], v[214:215] op_sel:[0,0,1] op_sel_hi:[1,0,0]
	v_pk_fma_f32 v[214:215], v[116:117], s[20:21], v[214:215] op_sel:[0,0,1] op_sel_hi:[1,0,0] neg_lo:[0,0,1] neg_hi:[0,0,1]
	v_pk_mul_f32 v[220:221], v[128:129], s[36:37] op_sel_hi:[1,0]
	v_pk_add_f32 v[200:201], v[206:207], v[200:201]
	v_mov_b32_e32 v218, v216
	v_mov_b32_e32 v219, v215
	v_pk_fma_f32 v[222:223], v[120:121], s[34:35], v[220:221] op_sel:[0,0,1] op_sel_hi:[1,0,0]
	v_pk_fma_f32 v[220:221], v[120:121], s[34:35], v[220:221] op_sel:[0,0,1] op_sel_hi:[1,0,0] neg_lo:[0,0,1] neg_hi:[0,0,1]
	v_pk_add_f32 v[200:201], v[212:213], v[200:201]
	v_pk_mul_f32 v[206:207], v[130:131], s[14:15] op_sel_hi:[1,0]
	v_mov_b32_e32 v224, v222
	v_mov_b32_e32 v225, v221
	v_pk_add_f32 v[200:201], v[218:219], v[200:201]
	v_pk_fma_f32 v[212:213], v[122:123], s[10:11], v[206:207] op_sel:[0,0,1] op_sel_hi:[1,0,0]
	v_pk_fma_f32 v[206:207], v[122:123], s[10:11], v[206:207] op_sel:[0,0,1] op_sel_hi:[1,0,0] neg_lo:[0,0,1] neg_hi:[0,0,1]
	v_pk_add_f32 v[200:201], v[224:225], v[200:201]
	v_mov_b32_e32 v218, v212
	v_mov_b32_e32 v219, v207
	v_pk_add_f32 v[200:201], v[218:219], v[200:201]
	v_pk_mul_f32 v[106:107], v[106:107], s[24:25] op_sel_hi:[1,0]
	ds_write2_b64 v140, v[172:173], v[200:201] offset0:4 offset1:5
	v_pk_fma_f32 v[172:173], v[52:53], s[20:21], v[106:107] op_sel:[0,0,1] op_sel_hi:[1,0,0]
	v_pk_fma_f32 v[52:53], v[52:53], s[20:21], v[106:107] op_sel:[0,0,1] op_sel_hi:[1,0,0] neg_lo:[0,0,1] neg_hi:[0,0,1]
	v_pk_mul_f32 v[110:111], v[110:111], s[36:37] op_sel_hi:[1,0]
	v_mov_b32_e32 v106, v172
	v_mov_b32_e32 v107, v53
	v_pk_fma_f32 v[200:201], v[108:109], s[34:35], v[110:111] op_sel:[0,0,1] op_sel_hi:[1,0,0]
	v_pk_fma_f32 v[108:109], v[108:109], s[34:35], v[110:111] op_sel:[0,0,1] op_sel_hi:[1,0,0] neg_lo:[0,0,1] neg_hi:[0,0,1]
	v_pk_mul_f32 v[114:115], v[114:115], s[30:31] op_sel_hi:[1,0]
	v_mov_b32_e32 v53, v173
	v_mov_b32_e32 v110, v200
	;; [unrolled: 1-line block ×3, first 2 shown]
	v_pk_fma_f32 v[218:219], v[112:113], s[22:23], v[114:115] op_sel:[0,0,1] op_sel_hi:[1,0,0]
	v_pk_fma_f32 v[112:113], v[112:113], s[22:23], v[114:115] op_sel:[0,0,1] op_sel_hi:[1,0,0] neg_lo:[0,0,1] neg_hi:[0,0,1]
	v_pk_mul_f32 v[118:119], v[118:119], s[38:39] op_sel_hi:[1,0]
	v_pk_add_f32 v[106:107], v[28:29], v[106:107]
	v_mov_b32_e32 v109, v201
	v_pk_add_f32 v[52:53], v[28:29], v[52:53]
	v_mov_b32_e32 v114, v218
	v_mov_b32_e32 v115, v113
	v_pk_fma_f32 v[224:225], v[116:117], s[8:9], v[118:119] op_sel:[0,0,1] op_sel_hi:[1,0,0]
	v_pk_fma_f32 v[116:117], v[116:117], s[8:9], v[118:119] op_sel:[0,0,1] op_sel_hi:[1,0,0] neg_lo:[0,0,1] neg_hi:[0,0,1]
	v_pk_mul_f32 v[128:129], v[128:129], s[14:15] op_sel_hi:[1,0]
	v_pk_add_f32 v[106:107], v[110:111], v[106:107]
	v_mov_b32_e32 v113, v219
	v_pk_add_f32 v[52:53], v[108:109], v[52:53]
	v_mov_b32_e32 v118, v224
	v_mov_b32_e32 v119, v117
	v_pk_fma_f32 v[226:227], v[120:121], s[10:11], v[128:129] op_sel:[0,0,1] op_sel_hi:[1,0,0]
	v_pk_fma_f32 v[120:121], v[120:121], s[10:11], v[128:129] op_sel:[0,0,1] op_sel_hi:[1,0,0] neg_lo:[0,0,1] neg_hi:[0,0,1]
	v_pk_add_f32 v[106:107], v[114:115], v[106:107]
	v_pk_mul_f32 v[110:111], v[130:131], s[18:19] op_sel_hi:[1,0]
	v_mov_b32_e32 v117, v225
	v_pk_add_f32 v[52:53], v[112:113], v[52:53]
	v_mov_b32_e32 v128, v226
	v_mov_b32_e32 v129, v121
	v_pk_add_f32 v[106:107], v[118:119], v[106:107]
	v_pk_fma_f32 v[114:115], v[122:123], s[16:17], v[110:111] op_sel:[0,0,1] op_sel_hi:[1,0,0]
	v_pk_fma_f32 v[110:111], v[122:123], s[16:17], v[110:111] op_sel:[0,0,1] op_sel_hi:[1,0,0] neg_lo:[0,0,1] neg_hi:[0,0,1]
	v_mov_b32_e32 v121, v227
	v_pk_add_f32 v[52:53], v[116:117], v[52:53]
	v_pk_add_f32 v[106:107], v[128:129], v[106:107]
	v_mov_b32_e32 v118, v114
	v_mov_b32_e32 v119, v111
	v_pk_add_f32 v[52:53], v[120:121], v[52:53]
	v_mov_b32_e32 v111, v115
	v_pk_add_f32 v[106:107], v[118:119], v[106:107]
	v_pk_add_f32 v[52:53], v[110:111], v[52:53]
	v_mov_b32_e32 v193, v199
	v_mov_b32_e32 v151, v169
	ds_write2_b64 v140, v[106:107], v[52:53] offset0:6 offset1:7
	v_mov_b32_e32 v203, v205
	v_pk_add_f32 v[52:53], v[28:29], v[192:193]
	v_mov_b32_e32 v177, v179
	v_pk_add_f32 v[106:107], v[28:29], v[150:151]
	;; [unrolled: 2-line block ×8, first 2 shown]
	v_pk_add_f32 v[52:53], v[220:221], v[52:53]
	v_mov_b32_e32 v207, v213
	v_pk_add_f32 v[106:107], v[194:195], v[106:107]
	v_mov_b32_e32 v181, v187
	v_pk_add_f32 v[52:53], v[206:207], v[52:53]
	v_pk_add_f32 v[106:107], v[180:181], v[106:107]
	v_mov_b32_e32 v135, v137
	v_mov_b32_e32 v31, v33
	ds_write2_b64 v140, v[52:53], v[106:107] offset0:8 offset1:9
	v_mov_b32_e32 v153, v155
	v_pk_add_f32 v[52:53], v[28:29], v[134:135]
	v_mov_b32_e32 v35, v39
	v_pk_add_f32 v[28:29], v[28:29], v[30:31]
	;; [unrolled: 2-line block ×8, first 2 shown]
	v_pk_add_f32 v[52:53], v[170:171], v[52:53]
	v_mov_b32_e32 v157, v163
	v_pk_add_f32 v[28:29], v[48:49], v[28:29]
	v_mov_b32_e32 v127, v125
	v_pk_add_f32 v[52:53], v[156:157], v[52:53]
	v_pk_add_f32 v[28:29], v[126:127], v[28:29]
	ds_write2_b64 v140, v[52:53], v[28:29] offset0:10 offset1:11
	ds_write_b64 v140, v[84:85] offset:96
	v_add_u32_e32 v28, 0x400, v138
	s_waitcnt lgkmcnt(0)
	; wave barrier
	s_waitcnt lgkmcnt(0)
	ds_read2_b64 v[42:45], v138 offset0:160 offset1:208
	ds_read2_b64 v[50:53], v138 offset0:32 offset1:64
	;; [unrolled: 1-line block ×5, first 2 shown]
	ds_read_b64 v[30:31], v139
	ds_read_b64 v[106:107], v138 offset:2944
	v_mov_b32_e32 v98, v99
	v_mov_b32_e32 v108, v96
	;; [unrolled: 1-line block ×4, first 2 shown]
	s_and_saveexec_b64 s[8:9], vcc
	s_cbranch_execz .LBB0_13
; %bb.12:
	ds_read_b64 v[84:85], v132 offset:1536
	ds_read_b64 v[54:55], v138 offset:3200
.LBB0_13:
	s_or_b64 exec, exec, s[8:9]
	v_mov_b32_e32 v28, v89
	s_waitcnt lgkmcnt(6)
	v_pk_mul_f32 v[28:29], v[28:29], v[44:45] op_sel:[0,1] op_sel_hi:[1,0]
	v_pk_mul_f32 v[110:111], v[88:89], v[44:45] op_sel:[0,1] op_sel_hi:[1,0]
	v_pk_fma_f32 v[28:29], v[88:89], v[44:45], v[28:29]
	s_waitcnt lgkmcnt(4)
	v_pk_mul_f32 v[98:99], v[98:99], v[34:35]
	v_mov_b32_e32 v29, v110
	v_pk_fma_f32 v[44:45], v[88:89], v[44:45], v[28:29] op_sel:[0,1,0] op_sel_hi:[1,0,1] neg_lo:[1,0,0] neg_hi:[1,0,0]
	s_waitcnt lgkmcnt(2)
	v_pk_mul_f32 v[96:97], v[96:97], v[38:39]
	s_waitcnt lgkmcnt(0)
	v_mov_b32_e32 v44, v55
	v_pk_mul_f32 v[116:117], v[94:95], v[44:45] op_sel_hi:[1,0]
	v_mov_b32_e32 v29, v45
	v_pk_fma_f32 v[44:45], v[36:37], v[34:35], v[98:99] op_sel:[0,0,1] op_sel_hi:[1,1,0]
	v_pk_fma_f32 v[34:35], v[36:37], v[34:35], v[98:99] op_sel:[0,0,1] op_sel_hi:[1,1,0] neg_lo:[0,0,1] neg_hi:[0,0,1]
	v_pk_mul_f32 v[110:111], v[86:87], v[32:33] op_sel:[1,0]
	v_mov_b32_e32 v45, v35
	v_pk_add_f32 v[36:37], v[52:53], v[44:45] neg_lo:[0,1] neg_hi:[0,1]
	v_pk_fma_f32 v[44:45], v[108:109], v[38:39], v[96:97] op_sel:[0,0,1] op_sel_hi:[1,1,0]
	v_pk_fma_f32 v[38:39], v[108:109], v[38:39], v[96:97] op_sel:[0,0,1] op_sel_hi:[1,1,0] neg_lo:[0,0,1] neg_hi:[0,0,1]
	v_pk_mul_f32 v[112:113], v[92:93], v[40:41] op_sel:[1,0]
	v_mov_b32_e32 v45, v39
	v_pk_add_f32 v[28:29], v[30:31], v[28:29] neg_lo:[0,1] neg_hi:[0,1]
	v_pk_add_f32 v[44:45], v[46:47], v[44:45] neg_lo:[0,1] neg_hi:[0,1]
	v_pk_fma_f32 v[88:89], v[30:31], 2.0, v[28:29] op_sel_hi:[1,0,1] neg_lo:[0,0,1] neg_hi:[0,0,1]
	v_pk_fma_f32 v[30:31], v[86:87], v[32:33], v[110:111] op_sel:[0,0,1] op_sel_hi:[1,1,0]
	v_pk_fma_f32 v[32:33], v[86:87], v[32:33], v[110:111] op_sel:[0,0,1] op_sel_hi:[0,1,0] neg_lo:[0,0,1] neg_hi:[0,0,1]
	v_pk_fma_f32 v[38:39], v[46:47], 2.0, v[44:45] op_sel_hi:[1,0,1] neg_lo:[0,0,1] neg_hi:[0,0,1]
	v_pk_fma_f32 v[46:47], v[92:93], v[40:41], v[112:113] op_sel:[0,0,1] op_sel_hi:[1,1,0]
	v_pk_fma_f32 v[40:41], v[92:93], v[40:41], v[112:113] op_sel:[0,0,1] op_sel_hi:[0,1,0] neg_lo:[0,0,1] neg_hi:[0,0,1]
	v_mov_b32_e32 v31, v33
	v_mov_b32_e32 v47, v41
	v_pk_mul_f32 v[114:115], v[90:91], v[106:107] op_sel:[1,0]
	v_pk_add_f32 v[32:33], v[50:51], v[30:31] neg_lo:[0,1] neg_hi:[0,1]
	v_pk_add_f32 v[40:41], v[48:49], v[46:47] neg_lo:[0,1] neg_hi:[0,1]
	v_pk_fma_f32 v[30:31], v[50:51], 2.0, v[32:33] op_sel_hi:[1,0,1] neg_lo:[0,0,1] neg_hi:[0,0,1]
	v_pk_fma_f32 v[46:47], v[48:49], 2.0, v[40:41] op_sel_hi:[1,0,1] neg_lo:[0,0,1] neg_hi:[0,0,1]
	v_pk_fma_f32 v[48:49], v[90:91], v[106:107], v[114:115] op_sel:[0,0,1] op_sel_hi:[1,1,0]
	v_pk_fma_f32 v[50:51], v[90:91], v[106:107], v[114:115] op_sel:[0,0,1] op_sel_hi:[0,1,0] neg_lo:[0,0,1] neg_hi:[0,0,1]
	v_mov_b32_e32 v49, v51
	v_pk_fma_f32 v[34:35], v[52:53], 2.0, v[36:37] op_sel_hi:[1,0,1] neg_lo:[0,0,1] neg_hi:[0,0,1]
	v_pk_add_f32 v[52:53], v[42:43], v[48:49] neg_lo:[0,1] neg_hi:[0,1]
	v_pk_fma_f32 v[48:49], v[94:95], v[54:55], v[116:117] op_sel:[0,0,1] op_sel_hi:[1,1,0]
	v_pk_fma_f32 v[50:51], v[94:95], v[54:55], v[116:117] op_sel:[0,0,1] op_sel_hi:[1,0,0] neg_lo:[1,0,0] neg_hi:[1,0,0]
	v_pk_fma_f32 v[42:43], v[42:43], 2.0, v[52:53] op_sel_hi:[1,0,1] neg_lo:[0,0,1] neg_hi:[0,0,1]
	v_mov_b32_e32 v49, v51
	v_pk_add_f32 v[48:49], v[84:85], v[48:49] neg_lo:[0,1] neg_hi:[0,1]
	s_nop 0
	v_pk_fma_f32 v[54:55], v[84:85], 2.0, v[48:49] op_sel_hi:[1,0,1] neg_lo:[0,0,1] neg_hi:[0,0,1]
	; wave barrier
	ds_write2_b64 v143, v[88:89], v[28:29] offset1:13
	ds_write2_b64 v144, v[30:31], v[32:33] offset1:13
	;; [unrolled: 1-line block ×6, first 2 shown]
	s_and_saveexec_b64 s[8:9], vcc
	s_cbranch_execz .LBB0_15
; %bb.14:
	v_add_u32_sdwa v50, v148, v142 dst_sel:DWORD dst_unused:UNUSED_PAD src0_sel:DWORD src1_sel:BYTE_0
	v_lshl_add_u32 v50, v50, 3, v133
	ds_write2_b64 v50, v[54:55], v[48:49] offset1:13
.LBB0_15:
	s_or_b64 exec, exec, s[8:9]
	s_waitcnt lgkmcnt(0)
	; wave barrier
	s_waitcnt lgkmcnt(0)
	s_and_saveexec_b64 s[8:9], s[2:3]
	s_xor_b64 s[2:3], exec, s[8:9]
	s_andn2_saveexec_b64 s[2:3], s[2:3]
	s_cbranch_execz .LBB0_17
; %bb.16:
	ds_read2_b64 v[28:31], v138 offset0:26 offset1:52
	ds_read2_b64 v[32:35], v138 offset0:78 offset1:104
	;; [unrolled: 1-line block ×4, first 2 shown]
	v_add_u32_e32 v40, 0x400, v138
	v_add_u32_e32 v52, 0x800, v138
	ds_read_b64 v[88:89], v139
	ds_read_b64 v[102:103], v138 offset:3120
	ds_read2_b64 v[48:51], v52 offset0:82 offset1:108
	ds_read2_b64 v[40:43], v40 offset0:106 offset1:132
	;; [unrolled: 1-line block ×3, first 2 shown]
	s_waitcnt lgkmcnt(3)
	v_mov_b32_e32 v104, v103
	s_waitcnt lgkmcnt(2)
	v_mov_b32_e32 v105, v51
	v_mov_b32_e32 v103, v50
.LBB0_17:
	s_or_b64 exec, exec, s[2:3]
	s_and_saveexec_b64 s[2:3], s[0:1]
	s_cbranch_execz .LBB0_19
; %bb.18:
	v_pk_mul_f32 v[86:87], v[6:7], v[38:39] op_sel:[0,1]
	v_pk_mul_f32 v[90:91], v[22:23], v[104:105] op_sel:[0,1]
	v_pk_fma_f32 v[118:119], v[6:7], v[38:39], v[86:87] op_sel:[0,0,1] op_sel_hi:[1,1,0]
	v_pk_fma_f32 v[6:7], v[6:7], v[38:39], v[86:87] op_sel:[0,0,1] op_sel_hi:[1,0,0] neg_lo:[1,0,0] neg_hi:[1,0,0]
	v_pk_mul_f32 v[50:51], v[2:3], v[30:31] op_sel:[0,1]
	v_mov_b32_e32 v119, v7
	v_pk_fma_f32 v[6:7], v[22:23], v[102:103], v[90:91] op_sel:[0,1,1] op_sel_hi:[1,1,0]
	v_pk_fma_f32 v[22:23], v[22:23], v[102:103], v[90:91] op_sel:[0,1,1] op_sel_hi:[1,1,0] neg_lo:[1,0,0] neg_hi:[1,0,0]
	s_waitcnt lgkmcnt(1)
	v_pk_mul_f32 v[84:85], v[18:19], v[42:43] op_sel:[0,1]
	v_mov_b32_e32 v7, v23
	v_pk_fma_f32 v[22:23], v[2:3], v[30:31], v[50:51] op_sel:[0,0,1] op_sel_hi:[1,1,0]
	v_pk_fma_f32 v[2:3], v[2:3], v[30:31], v[50:51] op_sel:[0,0,1] op_sel_hi:[1,0,0] neg_lo:[1,0,0] neg_hi:[1,0,0]
	v_pk_mul_f32 v[94:95], v[10:11], v[34:35] op_sel:[0,1]
	v_mov_b32_e32 v23, v3
	v_pk_fma_f32 v[2:3], v[18:19], v[42:43], v[84:85] op_sel:[0,0,1] op_sel_hi:[1,1,0]
	v_pk_fma_f32 v[18:19], v[18:19], v[42:43], v[84:85] op_sel:[0,0,1] op_sel_hi:[1,0,0] neg_lo:[1,0,0] neg_hi:[1,0,0]
	s_waitcnt lgkmcnt(0)
	v_pk_mul_f32 v[96:97], v[26:27], v[54:55] op_sel:[0,1]
	v_mov_b32_e32 v3, v19
	v_pk_fma_f32 v[18:19], v[10:11], v[34:35], v[94:95] op_sel:[0,0,1] op_sel_hi:[1,1,0]
	v_pk_fma_f32 v[10:11], v[10:11], v[34:35], v[94:95] op_sel:[0,0,1] op_sel_hi:[1,0,0] neg_lo:[1,0,0] neg_hi:[1,0,0]
	v_pk_mul_f32 v[92:93], v[14:15], v[46:47] op_sel:[0,1]
	v_mov_b32_e32 v19, v11
	v_pk_fma_f32 v[10:11], v[26:27], v[54:55], v[96:97] op_sel:[0,0,1] op_sel_hi:[1,1,0]
	v_pk_fma_f32 v[26:27], v[26:27], v[54:55], v[96:97] op_sel:[0,0,1] op_sel_hi:[1,0,0] neg_lo:[1,0,0] neg_hi:[1,0,0]
	;; [unrolled: 4-line block ×3, first 2 shown]
	v_pk_mul_f32 v[104:105], v[100:101], v[104:105] op_sel_hi:[1,0]
	v_mov_b32_e32 v27, v15
	v_pk_add_f32 v[14:15], v[88:89], v[26:27] neg_lo:[0,1] neg_hi:[0,1]
	v_pk_fma_f32 v[26:27], v[12:13], v[44:45], v[108:109] op_sel:[0,0,1] op_sel_hi:[1,1,0]
	v_pk_fma_f32 v[12:13], v[12:13], v[44:45], v[108:109] op_sel:[0,0,1] op_sel_hi:[1,0,0] neg_lo:[1,0,0] neg_hi:[1,0,0]
	v_pk_mul_f32 v[98:99], v[8:9], v[32:33] op_sel:[0,1]
	v_mov_b32_e32 v27, v13
	v_pk_fma_f32 v[12:13], v[100:101], v[102:103], v[104:105] op_sel:[0,0,1] op_sel_hi:[1,1,0]
	v_pk_fma_f32 v[30:31], v[100:101], v[102:103], v[104:105] op_sel:[0,0,1] op_sel_hi:[1,0,0] neg_lo:[1,0,0] neg_hi:[1,0,0]
	v_pk_mul_f32 v[106:107], v[24:25], v[52:53] op_sel:[0,1]
	v_mov_b32_e32 v13, v31
	;; [unrolled: 4-line block ×6, first 2 shown]
	v_pk_fma_f32 v[20:21], v[0:1], v[28:29], v[110:111] op_sel:[0,0,1] op_sel_hi:[1,1,0]
	v_pk_fma_f32 v[0:1], v[0:1], v[28:29], v[110:111] op_sel:[0,0,1] op_sel_hi:[1,0,0] neg_lo:[1,0,0] neg_hi:[1,0,0]
	v_pk_add_f32 v[6:7], v[118:119], v[6:7] neg_lo:[0,1] neg_hi:[0,1]
	v_mov_b32_e32 v21, v1
	v_pk_fma_f32 v[0:1], v[16:17], v[40:41], v[112:113] op_sel:[0,0,1] op_sel_hi:[1,1,0]
	v_pk_fma_f32 v[16:17], v[16:17], v[40:41], v[112:113] op_sel:[0,0,1] op_sel_hi:[1,0,0] neg_lo:[1,0,0] neg_hi:[1,0,0]
	v_pk_add_f32 v[2:3], v[22:23], v[2:3] neg_lo:[0,1] neg_hi:[0,1]
	v_mov_b32_e32 v1, v17
	v_pk_add_f32 v[10:11], v[18:19], v[10:11] neg_lo:[0,1] neg_hi:[0,1]
	v_pk_add_f32 v[12:13], v[26:27], v[12:13] neg_lo:[0,1] neg_hi:[0,1]
	;; [unrolled: 1-line block ×5, first 2 shown]
	v_pk_fma_f32 v[16:17], v[22:23], 2.0, v[2:3] op_sel_hi:[1,0,1] neg_lo:[0,0,1] neg_hi:[0,0,1]
	v_pk_fma_f32 v[22:23], v[118:119], 2.0, v[6:7] op_sel_hi:[1,0,1] neg_lo:[0,0,1] neg_hi:[0,0,1]
	;; [unrolled: 1-line block ×8, first 2 shown]
	v_pk_add_f32 v[22:23], v[16:17], v[22:23] neg_lo:[0,1] neg_hi:[0,1]
	v_pk_add_f32 v[18:19], v[28:29], v[18:19] neg_lo:[0,1] neg_hi:[0,1]
	;; [unrolled: 1-line block ×4, first 2 shown]
	v_pk_fma_f32 v[28:29], v[28:29], 2.0, v[18:19] op_sel_hi:[1,0,1] neg_lo:[0,0,1] neg_hi:[0,0,1]
	v_pk_fma_f32 v[16:17], v[16:17], 2.0, v[22:23] op_sel_hi:[1,0,1] neg_lo:[0,0,1] neg_hi:[0,0,1]
	;; [unrolled: 1-line block ×4, first 2 shown]
	v_pk_add_f32 v[16:17], v[28:29], v[16:17] neg_lo:[0,1] neg_hi:[0,1]
	v_pk_add_f32 v[30:31], v[20:21], v[30:31] neg_lo:[0,1] neg_hi:[0,1]
	v_pk_fma_f32 v[28:29], v[28:29], 2.0, v[16:17] op_sel_hi:[1,0,1] neg_lo:[0,0,1] neg_hi:[0,0,1]
	v_pk_fma_f32 v[20:21], v[20:21], 2.0, v[30:31] op_sel_hi:[1,0,1] neg_lo:[0,0,1] neg_hi:[0,0,1]
	s_mov_b32 s0, 0x3f3504f3
	v_pk_add_f32 v[20:21], v[28:29], v[20:21] neg_lo:[0,1] neg_hi:[0,1]
	s_mov_b32 s8, 0x3ec3ef15
	v_pk_fma_f32 v[28:29], v[28:29], 2.0, v[20:21] op_sel_hi:[1,0,1] neg_lo:[0,0,1] neg_hi:[0,0,1]
	ds_write_b64 v139, v[28:29]
	v_pk_add_f32 v[28:29], v[2:3], v[6:7] op_sel:[0,1] op_sel_hi:[1,0]
	v_pk_add_f32 v[6:7], v[2:3], v[6:7] op_sel:[0,1] op_sel_hi:[1,0] neg_lo:[0,1] neg_hi:[0,1]
	s_mov_b32 s10, 0x3f6c835e
	v_mov_b32_e32 v29, v7
	v_pk_add_f32 v[6:7], v[14:15], v[10:11] op_sel:[0,1] op_sel_hi:[1,0]
	v_pk_add_f32 v[10:11], v[14:15], v[10:11] op_sel:[0,1] op_sel_hi:[1,0] neg_lo:[0,1] neg_hi:[0,1]
	v_pk_fma_f32 v[2:3], v[2:3], 2.0, v[28:29] op_sel_hi:[1,0,1] neg_lo:[0,0,1] neg_hi:[0,0,1]
	v_mov_b32_e32 v7, v11
	v_pk_add_f32 v[10:11], v[8:9], v[12:13] op_sel:[0,1] op_sel_hi:[1,0]
	v_pk_add_f32 v[12:13], v[8:9], v[12:13] op_sel:[0,1] op_sel_hi:[1,0] neg_lo:[0,1] neg_hi:[0,1]
	v_pk_fma_f32 v[14:15], v[14:15], 2.0, v[6:7] op_sel_hi:[1,0,1] neg_lo:[0,0,1] neg_hi:[0,0,1]
	v_mov_b32_e32 v11, v13
	v_pk_add_f32 v[12:13], v[0:1], v[4:5] op_sel:[0,1] op_sel_hi:[1,0]
	v_pk_add_f32 v[4:5], v[0:1], v[4:5] op_sel:[0,1] op_sel_hi:[1,0] neg_lo:[0,1] neg_hi:[0,1]
	s_nop 0
	v_mov_b32_e32 v13, v5
	v_pk_mul_f32 v[4:5], v[2:3], s[0:1] op_sel_hi:[1,0]
	v_pk_fma_f32 v[2:3], v[2:3], s[0:1], v[14:15] op_sel_hi:[1,0,1] neg_lo:[1,0,0] neg_hi:[1,0,0]
	v_pk_fma_f32 v[0:1], v[0:1], 2.0, v[12:13] op_sel_hi:[1,0,1] neg_lo:[0,0,1] neg_hi:[0,0,1]
	v_pk_add_f32 v[32:33], v[2:3], v[4:5] op_sel:[0,1] op_sel_hi:[1,0]
	v_pk_add_f32 v[2:3], v[2:3], v[4:5] op_sel:[0,1] op_sel_hi:[1,0] neg_lo:[0,1] neg_hi:[0,1]
	v_pk_fma_f32 v[4:5], v[8:9], 2.0, v[10:11] op_sel_hi:[1,0,1] neg_lo:[0,0,1] neg_hi:[0,0,1]
	v_mov_b32_e32 v33, v3
	v_pk_mul_f32 v[8:9], v[4:5], s[0:1] op_sel_hi:[1,0]
	v_pk_fma_f32 v[4:5], v[4:5], s[0:1], v[0:1] op_sel_hi:[1,0,1] neg_lo:[1,0,0] neg_hi:[1,0,0]
	s_nop 0
	v_pk_add_f32 v[34:35], v[4:5], v[8:9] op_sel:[0,1] op_sel_hi:[1,0]
	v_pk_add_f32 v[4:5], v[4:5], v[8:9] op_sel:[0,1] op_sel_hi:[1,0] neg_lo:[0,1] neg_hi:[0,1]
	v_fmamk_f32 v8, v34, 0x3ec3ef15, v32
	v_mov_b32_e32 v35, v5
	v_fmamk_f32 v2, v5, 0x3ec3ef15, v3
	v_fmac_f32_e32 v8, 0x3f6c835e, v5
	v_pk_fma_f32 v[0:1], v[0:1], 2.0, v[34:35] op_sel_hi:[1,0,1] neg_lo:[0,0,1] neg_hi:[0,0,1]
	v_pk_fma_f32 v[4:5], v[14:15], 2.0, v[32:33] op_sel_hi:[1,0,1] neg_lo:[0,0,1] neg_hi:[0,0,1]
	v_pk_mul_f32 v[14:15], v[0:1], s[8:9] op_sel_hi:[1,0]
	v_pk_fma_f32 v[0:1], v[0:1], s[10:11], v[4:5] op_sel_hi:[1,0,1] neg_lo:[1,0,0] neg_hi:[1,0,0]
	v_fmamk_f32 v9, v34, 0xbf6c835e, v2
	v_fma_f32 v2, v32, 2.0, -v8
	v_pk_add_f32 v[32:33], v[0:1], v[14:15] op_sel:[0,1] op_sel_hi:[1,0]
	v_pk_add_f32 v[0:1], v[0:1], v[14:15] op_sel:[0,1] op_sel_hi:[1,0] neg_lo:[0,1] neg_hi:[0,1]
	v_pk_add_f32 v[14:15], v[18:19], v[22:23] op_sel:[0,1] op_sel_hi:[1,0] neg_lo:[0,1] neg_hi:[0,1]
	v_mov_b32_e32 v33, v1
	v_pk_fma_f32 v[0:1], v[4:5], 2.0, v[32:33] op_sel_hi:[1,0,1] neg_lo:[0,0,1] neg_hi:[0,0,1]
	v_pk_add_f32 v[4:5], v[18:19], v[22:23] op_sel:[0,1] op_sel_hi:[1,0]
	v_pk_add_f32 v[22:23], v[24:25], v[26:27] op_sel:[0,1] op_sel_hi:[1,0] neg_lo:[0,1] neg_hi:[0,1]
	v_mov_b32_e32 v5, v15
	v_pk_add_f32 v[14:15], v[24:25], v[26:27] op_sel:[0,1] op_sel_hi:[1,0]
	v_pk_fma_f32 v[18:19], v[18:19], 2.0, v[4:5] op_sel_hi:[1,0,1] neg_lo:[0,0,1] neg_hi:[0,0,1]
	v_mov_b32_e32 v15, v23
	v_pk_fma_f32 v[22:23], v[24:25], 2.0, v[14:15] op_sel_hi:[1,0,1] neg_lo:[0,0,1] neg_hi:[0,0,1]
	v_fma_f32 v3, v3, 2.0, -v9
	v_pk_mul_f32 v[24:25], v[22:23], s[0:1] op_sel_hi:[1,0]
	v_pk_fma_f32 v[22:23], v[22:23], s[0:1], v[18:19] op_sel_hi:[1,0,1] neg_lo:[1,0,0] neg_hi:[1,0,0]
	s_nop 0
	v_pk_add_f32 v[26:27], v[22:23], v[24:25] op_sel:[0,1] op_sel_hi:[1,0]
	v_pk_add_f32 v[22:23], v[22:23], v[24:25] op_sel:[0,1] op_sel_hi:[1,0] neg_lo:[0,1] neg_hi:[0,1]
	s_nop 0
	v_mov_b32_e32 v27, v23
	v_pk_fma_f32 v[18:19], v[18:19], 2.0, v[26:27] op_sel_hi:[1,0,1] neg_lo:[0,0,1] neg_hi:[0,0,1]
	ds_write2_b64 v138, v[0:1], v[18:19] offset0:26 offset1:52
	v_pk_mul_f32 v[0:1], v[28:29], s[0:1] op_sel_hi:[1,0]
	v_pk_fma_f32 v[18:19], v[28:29], s[0:1], v[6:7] op_sel_hi:[1,0,1]
	s_nop 0
	v_pk_add_f32 v[22:23], v[18:19], v[0:1] op_sel:[0,1] op_sel_hi:[1,0]
	v_pk_add_f32 v[0:1], v[18:19], v[0:1] op_sel:[0,1] op_sel_hi:[1,0] neg_lo:[0,1] neg_hi:[0,1]
	v_pk_mul_f32 v[18:19], v[10:11], s[0:1] op_sel_hi:[1,0]
	v_pk_fma_f32 v[10:11], v[10:11], s[0:1], v[12:13] op_sel_hi:[1,0,1]
	v_mov_b32_e32 v23, v1
	v_pk_add_f32 v[24:25], v[10:11], v[18:19] op_sel:[0,1] op_sel_hi:[1,0]
	v_pk_add_f32 v[10:11], v[10:11], v[18:19] op_sel:[0,1] op_sel_hi:[1,0] neg_lo:[0,1] neg_hi:[0,1]
	v_fmamk_f32 v18, v24, 0x3f6c835e, v22
	v_mov_b32_e32 v25, v11
	v_fmamk_f32 v0, v11, 0x3f6c835e, v1
	v_fmac_f32_e32 v18, 0x3ec3ef15, v11
	v_pk_fma_f32 v[10:11], v[12:13], 2.0, v[24:25] op_sel_hi:[1,0,1] neg_lo:[0,0,1] neg_hi:[0,0,1]
	v_pk_fma_f32 v[6:7], v[6:7], 2.0, v[22:23] op_sel_hi:[1,0,1] neg_lo:[0,0,1] neg_hi:[0,0,1]
	v_pk_mul_f32 v[12:13], v[10:11], s[10:11] op_sel_hi:[1,0]
	v_pk_fma_f32 v[10:11], v[10:11], s[8:9], v[6:7] op_sel_hi:[1,0,1] neg_lo:[1,0,0] neg_hi:[1,0,0]
	v_fmamk_f32 v19, v24, 0xbec3ef15, v0
	v_fma_f32 v0, v22, 2.0, -v18
	v_pk_add_f32 v[22:23], v[10:11], v[12:13] op_sel:[0,1] op_sel_hi:[1,0]
	v_pk_add_f32 v[10:11], v[10:11], v[12:13] op_sel:[0,1] op_sel_hi:[1,0] neg_lo:[0,1] neg_hi:[0,1]
	v_pk_add_f32 v[12:13], v[16:17], v[30:31] op_sel:[0,1] op_sel_hi:[1,0] neg_lo:[0,1] neg_hi:[0,1]
	v_mov_b32_e32 v23, v11
	v_pk_add_f32 v[10:11], v[16:17], v[30:31] op_sel:[0,1] op_sel_hi:[1,0]
	v_pk_fma_f32 v[6:7], v[6:7], 2.0, v[22:23] op_sel_hi:[1,0,1] neg_lo:[0,0,1] neg_hi:[0,0,1]
	v_mov_b32_e32 v11, v13
	v_pk_fma_f32 v[12:13], v[16:17], 2.0, v[10:11] op_sel_hi:[1,0,1] neg_lo:[0,0,1] neg_hi:[0,0,1]
	ds_write2_b64 v138, v[6:7], v[12:13] offset0:78 offset1:104
	v_pk_mul_f32 v[6:7], v[14:15], s[0:1] op_sel_hi:[1,0]
	v_pk_fma_f32 v[12:13], v[14:15], s[0:1], v[4:5] op_sel_hi:[1,0,1]
	v_fma_f32 v1, v1, 2.0, -v19
	v_pk_add_f32 v[14:15], v[12:13], v[6:7] op_sel:[0,1] op_sel_hi:[1,0]
	v_pk_add_f32 v[6:7], v[12:13], v[6:7] op_sel:[0,1] op_sel_hi:[1,0] neg_lo:[0,1] neg_hi:[0,1]
	s_nop 0
	v_mov_b32_e32 v15, v7
	v_pk_fma_f32 v[4:5], v[4:5], 2.0, v[14:15] op_sel_hi:[1,0,1] neg_lo:[0,0,1] neg_hi:[0,0,1]
	ds_write2_b64 v138, v[2:3], v[4:5] offset0:130 offset1:156
	ds_write2_b64 v138, v[0:1], v[20:21] offset0:182 offset1:208
	v_add_u32_e32 v0, 0x400, v138
	ds_write2_b64 v0, v[32:33], v[26:27] offset0:106 offset1:132
	v_add_u32_e32 v0, 0x800, v138
	ds_write2_b64 v0, v[22:23], v[10:11] offset0:30 offset1:56
	ds_write2_b64 v0, v[8:9], v[14:15] offset0:82 offset1:108
	ds_write_b64 v138, v[18:19] offset:3120
.LBB0_19:
	s_or_b64 exec, exec, s[2:3]
	s_waitcnt lgkmcnt(0)
	; wave barrier
	s_waitcnt lgkmcnt(0)
	ds_read_b64 v[2:3], v139
	v_mad_u64_u32 v[6:7], s[0:1], s6, v82, 0
	v_mov_b32_e32 v0, v7
	v_mad_u64_u32 v[0:1], s[0:1], s7, v82, v[0:1]
	v_mov_b32_e32 v7, v0
	s_waitcnt lgkmcnt(0)
	v_mul_f32_e32 v0, v81, v3
	v_fmac_f32_e32 v0, v80, v2
	s_mov_b32 s0, 0x13b13b14
	v_cvt_f64_f32_e32 v[0:1], v0
	s_mov_b32 s1, 0x3f63b13b
	v_mul_f64 v[0:1], v[0:1], s[0:1]
	v_cvt_f32_f64_e32 v12, v[0:1]
	v_mul_f32_e32 v0, v81, v2
	v_fma_f32 v0, v80, v3, -v0
	v_cvt_f64_f32_e32 v[0:1], v0
	v_mul_f64 v[0:1], v[0:1], s[0:1]
	v_mad_u64_u32 v[14:15], s[2:3], s4, v83, 0
	v_cvt_f32_f64_e32 v13, v[0:1]
	v_mov_b32_e32 v0, v15
	ds_read_b64 v[8:9], v132 offset:1536
	ds_read_b64 v[10:11], v138 offset:3072
	v_mad_u64_u32 v[16:17], s[2:3], s5, v83, v[0:1]
	ds_read2_b64 v[0:3], v138 offset0:32 offset1:64
	v_mov_b32_e32 v4, s12
	v_mov_b32_e32 v5, s13
	v_lshl_add_u64 v[4:5], v[6:7], 3, v[4:5]
	v_mov_b32_e32 v15, v16
	s_waitcnt lgkmcnt(0)
	v_mul_f32_e32 v6, v79, v1
	v_fmac_f32_e32 v6, v78, v0
	v_mul_f32_e32 v0, v79, v0
	v_fma_f32 v0, v78, v1, -v0
	v_cvt_f64_f32_e32 v[6:7], v6
	v_cvt_f64_f32_e32 v[0:1], v0
	v_mul_f64 v[6:7], v[6:7], s[0:1]
	v_mul_f64 v[0:1], v[0:1], s[0:1]
	v_cvt_f32_f64_e32 v6, v[6:7]
	v_cvt_f32_f64_e32 v7, v[0:1]
	v_mul_f32_e32 v0, v77, v3
	v_fmac_f32_e32 v0, v76, v2
	v_lshl_add_u64 v[4:5], v[14:15], 3, v[4:5]
	s_lshl_b64 s[2:3], s[4:5], 8
	v_cvt_f64_f32_e32 v[0:1], v0
	global_store_dwordx2 v[4:5], v[12:13], off
	v_lshl_add_u64 v[4:5], v[4:5], 0, s[2:3]
	v_mul_f64 v[0:1], v[0:1], s[0:1]
	global_store_dwordx2 v[4:5], v[6:7], off
	v_cvt_f32_f64_e32 v6, v[0:1]
	v_mul_f32_e32 v0, v77, v2
	v_fma_f32 v0, v76, v3, -v0
	v_cvt_f64_f32_e32 v[12:13], v0
	ds_read2_b64 v[0:3], v138 offset0:96 offset1:128
	v_mul_f64 v[12:13], v[12:13], s[0:1]
	v_cvt_f32_f64_e32 v7, v[12:13]
	v_lshl_add_u64 v[4:5], v[4:5], 0, s[2:3]
	global_store_dwordx2 v[4:5], v[6:7], off
	s_waitcnt lgkmcnt(0)
	v_mul_f32_e32 v6, v75, v1
	v_fmac_f32_e32 v6, v74, v0
	v_mul_f32_e32 v0, v75, v0
	v_fma_f32 v0, v74, v1, -v0
	v_cvt_f64_f32_e32 v[6:7], v6
	v_cvt_f64_f32_e32 v[0:1], v0
	v_mul_f64 v[6:7], v[6:7], s[0:1]
	v_mul_f64 v[0:1], v[0:1], s[0:1]
	v_cvt_f32_f64_e32 v6, v[6:7]
	v_cvt_f32_f64_e32 v7, v[0:1]
	v_mul_f32_e32 v0, v73, v3
	v_fmac_f32_e32 v0, v72, v2
	v_cvt_f64_f32_e32 v[0:1], v0
	v_lshl_add_u64 v[4:5], v[4:5], 0, s[2:3]
	v_mul_f64 v[0:1], v[0:1], s[0:1]
	global_store_dwordx2 v[4:5], v[6:7], off
	v_cvt_f32_f64_e32 v6, v[0:1]
	v_mul_f32_e32 v0, v73, v2
	v_fma_f32 v0, v72, v3, -v0
	v_cvt_f64_f32_e32 v[12:13], v0
	ds_read2_b64 v[0:3], v138 offset0:160 offset1:224
	v_mul_f64 v[12:13], v[12:13], s[0:1]
	v_cvt_f32_f64_e32 v7, v[12:13]
	v_lshl_add_u64 v[4:5], v[4:5], 0, s[2:3]
	global_store_dwordx2 v[4:5], v[6:7], off
	s_waitcnt lgkmcnt(0)
	v_mul_f32_e32 v6, v67, v1
	v_fmac_f32_e32 v6, v66, v0
	v_mul_f32_e32 v0, v67, v0
	v_fma_f32 v0, v66, v1, -v0
	v_cvt_f64_f32_e32 v[6:7], v6
	v_cvt_f64_f32_e32 v[0:1], v0
	v_mul_f64 v[6:7], v[6:7], s[0:1]
	v_mul_f64 v[0:1], v[0:1], s[0:1]
	v_cvt_f32_f64_e32 v6, v[6:7]
	v_cvt_f32_f64_e32 v7, v[0:1]
	v_lshl_add_u64 v[0:1], v[4:5], 0, s[2:3]
	v_mul_f32_e32 v4, v71, v9
	v_fmac_f32_e32 v4, v70, v8
	v_cvt_f64_f32_e32 v[4:5], v4
	v_mul_f64 v[4:5], v[4:5], s[0:1]
	v_cvt_f32_f64_e32 v4, v[4:5]
	v_mul_f32_e32 v5, v71, v8
	v_fma_f32 v5, v70, v9, -v5
	global_store_dwordx2 v[0:1], v[6:7], off
	v_cvt_f64_f32_e32 v[6:7], v5
	v_mul_f64 v[6:7], v[6:7], s[0:1]
	v_cvt_f32_f64_e32 v5, v[6:7]
	v_lshl_add_u64 v[6:7], v[0:1], 0, s[2:3]
	v_mul_f32_e32 v0, v69, v3
	v_fmac_f32_e32 v0, v68, v2
	v_cvt_f64_f32_e32 v[0:1], v0
	v_mul_f64 v[0:1], v[0:1], s[0:1]
	global_store_dwordx2 v[6:7], v[4:5], off
	v_cvt_f32_f64_e32 v4, v[0:1]
	v_mul_f32_e32 v0, v69, v2
	v_fma_f32 v0, v68, v3, -v0
	v_add_u32_e32 v12, 0x800, v138
	v_cvt_f64_f32_e32 v[8:9], v0
	ds_read2_b64 v[0:3], v12 offset1:32
	v_mul_f64 v[8:9], v[8:9], s[0:1]
	v_cvt_f32_f64_e32 v5, v[8:9]
	v_lshl_add_u64 v[6:7], v[6:7], 0, s[2:3]
	global_store_dwordx2 v[6:7], v[4:5], off
	s_waitcnt lgkmcnt(0)
	v_mul_f32_e32 v4, v63, v1
	v_fmac_f32_e32 v4, v62, v0
	v_mul_f32_e32 v0, v63, v0
	v_fma_f32 v0, v62, v1, -v0
	v_cvt_f64_f32_e32 v[4:5], v4
	v_cvt_f64_f32_e32 v[0:1], v0
	v_mul_f64 v[4:5], v[4:5], s[0:1]
	v_mul_f64 v[0:1], v[0:1], s[0:1]
	v_cvt_f32_f64_e32 v4, v[4:5]
	v_cvt_f32_f64_e32 v5, v[0:1]
	v_mul_f32_e32 v0, v65, v3
	v_fmac_f32_e32 v0, v64, v2
	v_cvt_f64_f32_e32 v[0:1], v0
	v_lshl_add_u64 v[6:7], v[6:7], 0, s[2:3]
	v_mul_f64 v[0:1], v[0:1], s[0:1]
	global_store_dwordx2 v[6:7], v[4:5], off
	v_cvt_f32_f64_e32 v4, v[0:1]
	v_mul_f32_e32 v0, v65, v2
	v_fma_f32 v0, v64, v3, -v0
	v_cvt_f64_f32_e32 v[8:9], v0
	ds_read2_b64 v[0:3], v12 offset0:64 offset1:96
	v_mul_f64 v[8:9], v[8:9], s[0:1]
	v_cvt_f32_f64_e32 v5, v[8:9]
	v_lshl_add_u64 v[6:7], v[6:7], 0, s[2:3]
	global_store_dwordx2 v[6:7], v[4:5], off
	s_waitcnt lgkmcnt(0)
	v_mul_f32_e32 v4, v59, v1
	v_fmac_f32_e32 v4, v58, v0
	v_mul_f32_e32 v0, v59, v0
	v_fma_f32 v0, v58, v1, -v0
	v_cvt_f64_f32_e32 v[4:5], v4
	v_cvt_f64_f32_e32 v[0:1], v0
	v_mul_f64 v[4:5], v[4:5], s[0:1]
	v_mul_f64 v[0:1], v[0:1], s[0:1]
	v_cvt_f32_f64_e32 v4, v[4:5]
	v_cvt_f32_f64_e32 v5, v[0:1]
	v_lshl_add_u64 v[0:1], v[6:7], 0, s[2:3]
	global_store_dwordx2 v[0:1], v[4:5], off
	v_mul_f32_e32 v4, v61, v3
	v_fmac_f32_e32 v4, v60, v2
	v_mul_f32_e32 v2, v61, v2
	v_fma_f32 v2, v60, v3, -v2
	v_cvt_f64_f32_e32 v[4:5], v4
	v_cvt_f64_f32_e32 v[2:3], v2
	v_mul_f64 v[4:5], v[4:5], s[0:1]
	v_mul_f64 v[2:3], v[2:3], s[0:1]
	v_cvt_f32_f64_e32 v4, v[4:5]
	v_cvt_f32_f64_e32 v5, v[2:3]
	v_mul_f32_e32 v2, v57, v11
	v_fmac_f32_e32 v2, v56, v10
	v_cvt_f64_f32_e32 v[2:3], v2
	v_mul_f64 v[2:3], v[2:3], s[0:1]
	v_cvt_f32_f64_e32 v2, v[2:3]
	v_mul_f32_e32 v3, v57, v10
	v_lshl_add_u64 v[0:1], v[0:1], 0, s[2:3]
	v_fma_f32 v3, v56, v11, -v3
	global_store_dwordx2 v[0:1], v[4:5], off
	v_cvt_f64_f32_e32 v[4:5], v3
	v_mul_f64 v[4:5], v[4:5], s[0:1]
	v_cvt_f32_f64_e32 v3, v[4:5]
	v_lshl_add_u64 v[0:1], v[0:1], 0, s[2:3]
	global_store_dwordx2 v[0:1], v[2:3], off
.LBB0_20:
	s_endpgm
	.section	.rodata,"a",@progbits
	.p2align	6, 0x0
	.amdhsa_kernel bluestein_single_fwd_len416_dim1_sp_op_CI_CI
		.amdhsa_group_segment_fixed_size 6656
		.amdhsa_private_segment_fixed_size 0
		.amdhsa_kernarg_size 104
		.amdhsa_user_sgpr_count 2
		.amdhsa_user_sgpr_dispatch_ptr 0
		.amdhsa_user_sgpr_queue_ptr 0
		.amdhsa_user_sgpr_kernarg_segment_ptr 1
		.amdhsa_user_sgpr_dispatch_id 0
		.amdhsa_user_sgpr_kernarg_preload_length 0
		.amdhsa_user_sgpr_kernarg_preload_offset 0
		.amdhsa_user_sgpr_private_segment_size 0
		.amdhsa_uses_dynamic_stack 0
		.amdhsa_enable_private_segment 0
		.amdhsa_system_sgpr_workgroup_id_x 1
		.amdhsa_system_sgpr_workgroup_id_y 0
		.amdhsa_system_sgpr_workgroup_id_z 0
		.amdhsa_system_sgpr_workgroup_info 0
		.amdhsa_system_vgpr_workitem_id 0
		.amdhsa_next_free_vgpr 228
		.amdhsa_next_free_sgpr 42
		.amdhsa_accum_offset 228
		.amdhsa_reserve_vcc 1
		.amdhsa_float_round_mode_32 0
		.amdhsa_float_round_mode_16_64 0
		.amdhsa_float_denorm_mode_32 3
		.amdhsa_float_denorm_mode_16_64 3
		.amdhsa_dx10_clamp 1
		.amdhsa_ieee_mode 1
		.amdhsa_fp16_overflow 0
		.amdhsa_tg_split 0
		.amdhsa_exception_fp_ieee_invalid_op 0
		.amdhsa_exception_fp_denorm_src 0
		.amdhsa_exception_fp_ieee_div_zero 0
		.amdhsa_exception_fp_ieee_overflow 0
		.amdhsa_exception_fp_ieee_underflow 0
		.amdhsa_exception_fp_ieee_inexact 0
		.amdhsa_exception_int_div_zero 0
	.end_amdhsa_kernel
	.text
.Lfunc_end0:
	.size	bluestein_single_fwd_len416_dim1_sp_op_CI_CI, .Lfunc_end0-bluestein_single_fwd_len416_dim1_sp_op_CI_CI
                                        ; -- End function
	.section	.AMDGPU.csdata,"",@progbits
; Kernel info:
; codeLenInByte = 12972
; NumSgprs: 48
; NumVgprs: 228
; NumAgprs: 0
; TotalNumVgprs: 228
; ScratchSize: 0
; MemoryBound: 0
; FloatMode: 240
; IeeeMode: 1
; LDSByteSize: 6656 bytes/workgroup (compile time only)
; SGPRBlocks: 5
; VGPRBlocks: 28
; NumSGPRsForWavesPerEU: 48
; NumVGPRsForWavesPerEU: 228
; AccumOffset: 228
; Occupancy: 2
; WaveLimiterHint : 1
; COMPUTE_PGM_RSRC2:SCRATCH_EN: 0
; COMPUTE_PGM_RSRC2:USER_SGPR: 2
; COMPUTE_PGM_RSRC2:TRAP_HANDLER: 0
; COMPUTE_PGM_RSRC2:TGID_X_EN: 1
; COMPUTE_PGM_RSRC2:TGID_Y_EN: 0
; COMPUTE_PGM_RSRC2:TGID_Z_EN: 0
; COMPUTE_PGM_RSRC2:TIDIG_COMP_CNT: 0
; COMPUTE_PGM_RSRC3_GFX90A:ACCUM_OFFSET: 56
; COMPUTE_PGM_RSRC3_GFX90A:TG_SPLIT: 0
	.text
	.p2alignl 6, 3212836864
	.fill 256, 4, 3212836864
	.type	__hip_cuid_3518717822d5bab8,@object ; @__hip_cuid_3518717822d5bab8
	.section	.bss,"aw",@nobits
	.globl	__hip_cuid_3518717822d5bab8
__hip_cuid_3518717822d5bab8:
	.byte	0                               ; 0x0
	.size	__hip_cuid_3518717822d5bab8, 1

	.ident	"AMD clang version 19.0.0git (https://github.com/RadeonOpenCompute/llvm-project roc-6.4.0 25133 c7fe45cf4b819c5991fe208aaa96edf142730f1d)"
	.section	".note.GNU-stack","",@progbits
	.addrsig
	.addrsig_sym __hip_cuid_3518717822d5bab8
	.amdgpu_metadata
---
amdhsa.kernels:
  - .agpr_count:     0
    .args:
      - .actual_access:  read_only
        .address_space:  global
        .offset:         0
        .size:           8
        .value_kind:     global_buffer
      - .actual_access:  read_only
        .address_space:  global
        .offset:         8
        .size:           8
        .value_kind:     global_buffer
      - .actual_access:  read_only
        .address_space:  global
        .offset:         16
        .size:           8
        .value_kind:     global_buffer
      - .actual_access:  read_only
        .address_space:  global
        .offset:         24
        .size:           8
        .value_kind:     global_buffer
      - .actual_access:  read_only
        .address_space:  global
        .offset:         32
        .size:           8
        .value_kind:     global_buffer
      - .offset:         40
        .size:           8
        .value_kind:     by_value
      - .address_space:  global
        .offset:         48
        .size:           8
        .value_kind:     global_buffer
      - .address_space:  global
        .offset:         56
        .size:           8
        .value_kind:     global_buffer
      - .address_space:  global
        .offset:         64
        .size:           8
        .value_kind:     global_buffer
      - .address_space:  global
        .offset:         72
        .size:           8
        .value_kind:     global_buffer
      - .offset:         80
        .size:           4
        .value_kind:     by_value
      - .address_space:  global
        .offset:         88
        .size:           8
        .value_kind:     global_buffer
      - .address_space:  global
        .offset:         96
        .size:           8
        .value_kind:     global_buffer
    .group_segment_fixed_size: 6656
    .kernarg_segment_align: 8
    .kernarg_segment_size: 104
    .language:       OpenCL C
    .language_version:
      - 2
      - 0
    .max_flat_workgroup_size: 64
    .name:           bluestein_single_fwd_len416_dim1_sp_op_CI_CI
    .private_segment_fixed_size: 0
    .sgpr_count:     48
    .sgpr_spill_count: 0
    .symbol:         bluestein_single_fwd_len416_dim1_sp_op_CI_CI.kd
    .uniform_work_group_size: 1
    .uses_dynamic_stack: false
    .vgpr_count:     228
    .vgpr_spill_count: 0
    .wavefront_size: 64
amdhsa.target:   amdgcn-amd-amdhsa--gfx950
amdhsa.version:
  - 1
  - 2
...

	.end_amdgpu_metadata
